;; amdgpu-corpus repo=ROCm/rocFFT kind=compiled arch=gfx906 opt=O3
	.text
	.amdgcn_target "amdgcn-amd-amdhsa--gfx906"
	.amdhsa_code_object_version 6
	.protected	bluestein_single_fwd_len1715_dim1_half_op_CI_CI ; -- Begin function bluestein_single_fwd_len1715_dim1_half_op_CI_CI
	.globl	bluestein_single_fwd_len1715_dim1_half_op_CI_CI
	.p2align	8
	.type	bluestein_single_fwd_len1715_dim1_half_op_CI_CI,@function
bluestein_single_fwd_len1715_dim1_half_op_CI_CI: ; @bluestein_single_fwd_len1715_dim1_half_op_CI_CI
; %bb.0:
	s_load_dwordx4 s[0:3], s[4:5], 0x28
	v_mul_u32_u24_e32 v1, 0x10c, v0
	v_add_u32_sdwa v14, s6, v1 dst_sel:DWORD dst_unused:UNUSED_PAD src0_sel:DWORD src1_sel:WORD_1
	v_mov_b32_e32 v15, 0
	s_waitcnt lgkmcnt(0)
	v_cmp_gt_u64_e32 vcc, s[0:1], v[14:15]
	s_and_saveexec_b64 s[0:1], vcc
	s_cbranch_execz .LBB0_15
; %bb.1:
	s_load_dwordx4 s[8:11], s[4:5], 0x18
	s_load_dwordx2 s[16:17], s[4:5], 0x0
	s_movk_i32 s0, 0xf5
	v_mul_lo_u16_sdwa v1, v1, s0 dst_sel:DWORD dst_unused:UNUSED_PAD src0_sel:WORD_1 src1_sel:DWORD
	v_sub_u16_e32 v27, v0, v1
	s_waitcnt lgkmcnt(0)
	s_load_dwordx4 s[12:15], s[8:9], 0x0
	v_lshlrev_b32_e32 v23, 2, v27
	global_load_dword v29, v23, s[16:17]
	s_load_dwordx2 s[6:7], s[4:5], 0x38
	s_waitcnt lgkmcnt(0)
	v_mad_u64_u32 v[0:1], s[0:1], s14, v14, 0
	v_mad_u64_u32 v[2:3], s[0:1], s12, v27, 0
	;; [unrolled: 1-line block ×4, first 2 shown]
	v_mov_b32_e32 v1, v4
	v_lshlrev_b64 v[0:1], 2, v[0:1]
	v_mov_b32_e32 v6, s3
	v_mov_b32_e32 v3, v5
	v_add_co_u32_e32 v4, vcc, s2, v0
	v_addc_co_u32_e32 v5, vcc, v6, v1, vcc
	v_lshlrev_b64 v[0:1], 2, v[2:3]
	s_mul_i32 s0, s13, 0x157
	s_mul_hi_u32 s1, s12, 0x157
	v_add_co_u32_e32 v0, vcc, v4, v0
	v_mov_b32_e32 v2, s17
	v_add_co_u32_e64 v12, s[2:3], s16, v23
	s_add_i32 s1, s1, s0
	s_mul_i32 s0, s12, 0x157
	v_addc_co_u32_e32 v1, vcc, v5, v1, vcc
	v_addc_co_u32_e64 v13, vcc, 0, v2, s[2:3]
	s_lshl_b64 s[14:15], s[0:1], 2
	global_load_dword v6, v[0:1], off
	v_mov_b32_e32 v7, s15
	v_add_co_u32_e32 v0, vcc, s14, v0
	v_addc_co_u32_e32 v1, vcc, v1, v7, vcc
	v_add_co_u32_e32 v2, vcc, s14, v0
	v_addc_co_u32_e32 v3, vcc, v1, v7, vcc
	;; [unrolled: 2-line block ×3, first 2 shown]
	s_movk_i32 s0, 0x1000
	global_load_dword v8, v[0:1], off
	global_load_dword v28, v23, s[16:17] offset:1372
	global_load_dword v26, v23, s[16:17] offset:2744
	v_add_co_u32_e32 v0, vcc, s0, v12
	v_addc_co_u32_e32 v1, vcc, 0, v13, vcc
	global_load_dword v9, v[2:3], off
	global_load_dword v10, v[4:5], off
	v_add_co_u32_e32 v2, vcc, s14, v4
	global_load_dword v25, v[0:1], off offset:20
	v_addc_co_u32_e32 v3, vcc, v5, v7, vcc
	global_load_dword v4, v[2:3], off
	global_load_dword v24, v[0:1], off offset:1392
	s_load_dwordx4 s[8:11], s[10:11], 0x0
	s_movk_i32 s0, 0x62
	v_cmp_gt_u16_e64 s[0:1], s0, v27
	s_waitcnt vmcnt(8)
	v_lshrrev_b32_e32 v5, 16, v6
	v_mul_f16_sdwa v7, v29, v6 dst_sel:DWORD dst_unused:UNUSED_PAD src0_sel:WORD_1 src1_sel:DWORD
	v_mul_f16_sdwa v11, v29, v5 dst_sel:DWORD dst_unused:UNUSED_PAD src0_sel:WORD_1 src1_sel:DWORD
	v_fma_f16 v5, v29, v5, -v7
	v_fma_f16 v6, v29, v6, v11
	v_pack_b32_f16 v5, v6, v5
	ds_write_b32 v23, v5
	s_waitcnt vmcnt(7)
	v_lshrrev_b32_e32 v7, 16, v8
	s_waitcnt vmcnt(6)
	v_mul_f16_sdwa v15, v28, v8 dst_sel:DWORD dst_unused:UNUSED_PAD src0_sel:WORD_1 src1_sel:DWORD
	v_mul_f16_sdwa v11, v28, v7 dst_sel:DWORD dst_unused:UNUSED_PAD src0_sel:WORD_1 src1_sel:DWORD
	v_fma_f16 v7, v28, v7, -v15
	v_fma_f16 v6, v28, v8, v11
	v_pack_b32_f16 v5, v6, v7
	s_waitcnt vmcnt(4)
	v_lshrrev_b32_e32 v15, 16, v9
	v_mul_f16_sdwa v16, v26, v9 dst_sel:DWORD dst_unused:UNUSED_PAD src0_sel:WORD_1 src1_sel:DWORD
	v_mul_f16_sdwa v8, v26, v15 dst_sel:DWORD dst_unused:UNUSED_PAD src0_sel:WORD_1 src1_sel:DWORD
	v_fma_f16 v11, v26, v15, -v16
	s_waitcnt vmcnt(3)
	v_lshrrev_b32_e32 v15, 16, v10
	s_waitcnt vmcnt(2)
	v_mul_f16_sdwa v16, v25, v10 dst_sel:DWORD dst_unused:UNUSED_PAD src0_sel:WORD_1 src1_sel:DWORD
	v_fma_f16 v6, v26, v9, v8
	v_mul_f16_sdwa v7, v25, v15 dst_sel:DWORD dst_unused:UNUSED_PAD src0_sel:WORD_1 src1_sel:DWORD
	s_waitcnt vmcnt(1)
	v_lshrrev_b32_e32 v9, 16, v4
	v_fma_f16 v8, v25, v15, -v16
	s_waitcnt vmcnt(0)
	v_mul_f16_sdwa v15, v24, v4 dst_sel:DWORD dst_unused:UNUSED_PAD src0_sel:WORD_1 src1_sel:DWORD
	ds_write_b32 v23, v5 offset:1372
	v_pack_b32_f16 v5, v6, v11
	v_fma_f16 v6, v25, v10, v7
	v_mul_f16_sdwa v7, v24, v9 dst_sel:DWORD dst_unused:UNUSED_PAD src0_sel:WORD_1 src1_sel:DWORD
	v_fma_f16 v9, v24, v9, -v15
	v_fma_f16 v4, v24, v4, v7
	ds_write_b32 v23, v5 offset:2744
	v_pack_b32_f16 v5, v6, v8
	v_pack_b32_f16 v4, v4, v9
	ds_write_b32 v23, v5 offset:4116
	ds_write_b32 v23, v4 offset:5488
	s_and_saveexec_b64 s[18:19], s[0:1]
	s_cbranch_execz .LBB0_3
; %bb.2:
	v_mov_b32_e32 v4, 0xffffee64
	v_mad_u64_u32 v[2:3], s[20:21], s12, v4, v[2:3]
	s_mulk_i32 s13, 0xee64
	s_sub_i32 s12, s13, s12
	v_add_u32_e32 v3, s12, v3
	global_load_dword v4, v[2:3], off
	global_load_dword v5, v[12:13], off offset:980
	v_mov_b32_e32 v6, s15
	v_add_co_u32_e32 v2, vcc, s14, v2
	v_addc_co_u32_e32 v3, vcc, v3, v6, vcc
	global_load_dword v7, v[2:3], off
	global_load_dword v8, v[12:13], off offset:2352
	v_add_co_u32_e32 v2, vcc, s14, v2
	v_addc_co_u32_e32 v3, vcc, v3, v6, vcc
	global_load_dword v9, v[2:3], off
	global_load_dword v10, v[12:13], off offset:3724
	;; [unrolled: 4-line block ×4, first 2 shown]
	s_waitcnt vmcnt(9)
	v_lshrrev_b32_e32 v0, 16, v4
	s_waitcnt vmcnt(8)
	v_mul_f16_sdwa v1, v5, v4 dst_sel:DWORD dst_unused:UNUSED_PAD src0_sel:WORD_1 src1_sel:DWORD
	v_mul_f16_sdwa v2, v5, v0 dst_sel:DWORD dst_unused:UNUSED_PAD src0_sel:WORD_1 src1_sel:DWORD
	v_fma_f16 v0, v5, v0, -v1
	v_fma_f16 v2, v5, v4, v2
	v_pack_b32_f16 v0, v2, v0
	s_waitcnt vmcnt(7)
	v_lshrrev_b32_e32 v1, 16, v7
	s_waitcnt vmcnt(6)
	v_mul_f16_sdwa v3, v8, v7 dst_sel:DWORD dst_unused:UNUSED_PAD src0_sel:WORD_1 src1_sel:DWORD
	v_mul_f16_sdwa v4, v8, v1 dst_sel:DWORD dst_unused:UNUSED_PAD src0_sel:WORD_1 src1_sel:DWORD
	v_fma_f16 v1, v8, v1, -v3
	v_fma_f16 v2, v8, v7, v4
	s_waitcnt vmcnt(5)
	v_lshrrev_b32_e32 v3, 16, v9
	s_waitcnt vmcnt(4)
	v_mul_f16_sdwa v5, v10, v9 dst_sel:DWORD dst_unused:UNUSED_PAD src0_sel:WORD_1 src1_sel:DWORD
	v_mul_f16_sdwa v4, v10, v3 dst_sel:DWORD dst_unused:UNUSED_PAD src0_sel:WORD_1 src1_sel:DWORD
	v_fma_f16 v3, v10, v3, -v5
	ds_write_b32 v23, v0 offset:980
	s_waitcnt vmcnt(3)
	v_lshrrev_b32_e32 v5, 16, v11
	s_waitcnt vmcnt(2)
	v_mul_f16_sdwa v7, v15, v11 dst_sel:DWORD dst_unused:UNUSED_PAD src0_sel:WORD_1 src1_sel:DWORD
	v_pack_b32_f16 v0, v2, v1
	v_fma_f16 v1, v10, v9, v4
	v_mul_f16_sdwa v2, v15, v5 dst_sel:DWORD dst_unused:UNUSED_PAD src0_sel:WORD_1 src1_sel:DWORD
	v_fma_f16 v4, v15, v5, -v7
	s_waitcnt vmcnt(1)
	v_lshrrev_b32_e32 v5, 16, v6
	s_waitcnt vmcnt(0)
	v_mul_f16_sdwa v7, v16, v6 dst_sel:DWORD dst_unused:UNUSED_PAD src0_sel:WORD_1 src1_sel:DWORD
	ds_write_b32 v23, v0 offset:2352
	v_pack_b32_f16 v0, v1, v3
	v_fma_f16 v1, v15, v11, v2
	v_mul_f16_sdwa v2, v16, v5 dst_sel:DWORD dst_unused:UNUSED_PAD src0_sel:WORD_1 src1_sel:DWORD
	v_fma_f16 v3, v16, v5, -v7
	ds_write_b32 v23, v0 offset:3724
	v_pack_b32_f16 v0, v1, v4
	v_fma_f16 v1, v16, v6, v2
	ds_write_b32 v23, v0 offset:5096
	v_pack_b32_f16 v0, v1, v3
	ds_write_b32 v23, v0 offset:6468
.LBB0_3:
	s_or_b64 exec, exec, s[18:19]
	s_waitcnt lgkmcnt(0)
	s_barrier
	ds_read_b32 v6, v23
	ds_read_b32 v7, v23 offset:1372
	ds_read_b32 v9, v23 offset:2744
	ds_read_b32 v5, v23 offset:4116
	ds_read_b32 v8, v23 offset:5488
	s_load_dwordx2 s[4:5], s[4:5], 0x8
                                        ; implicit-def: $vgpr0
                                        ; implicit-def: $vgpr1
                                        ; implicit-def: $vgpr2
                                        ; implicit-def: $vgpr3
                                        ; implicit-def: $vgpr4
	s_and_saveexec_b64 s[12:13], s[0:1]
	s_cbranch_execz .LBB0_5
; %bb.4:
	ds_read_b32 v4, v23 offset:980
	ds_read_b32 v1, v23 offset:2352
	;; [unrolled: 1-line block ×5, first 2 shown]
.LBB0_5:
	s_or_b64 exec, exec, s[12:13]
	s_waitcnt lgkmcnt(0)
	v_pk_add_f16 v11, v0, v2
	v_pk_add_f16 v18, v1, v3 neg_lo:[0,1] neg_hi:[0,1]
	v_pk_add_f16 v15, v1, v0 neg_lo:[0,1] neg_hi:[0,1]
	v_pk_add_f16 v16, v3, v2 neg_lo:[0,1] neg_hi:[0,1]
	v_pk_fma_f16 v19, v11, 0.5, v4 op_sel_hi:[1,0,1] neg_lo:[1,0,0] neg_hi:[1,0,0]
	s_movk_i32 s12, 0x3b9c
	v_pk_add_f16 v16, v15, v16
	v_pk_fma_f16 v11, v18, s12, v19 op_sel:[1,0,0] op_sel_hi:[0,0,1] neg_lo:[1,0,0] neg_hi:[1,0,0]
	v_pk_fma_f16 v15, v18, s12, v19 op_sel:[1,0,0] op_sel_hi:[0,0,1]
	v_mul_lo_u16_e32 v19, 5, v27
	v_lshlrev_b32_e32 v30, 2, v19
	v_pk_add_f16 v19, v9, v5
	v_pk_add_f16 v20, v7, v8 neg_lo:[0,1] neg_hi:[0,1]
	s_movk_i32 s15, 0x38b4
	v_pk_fma_f16 v19, v19, 0.5, v6 op_sel_hi:[1,0,1] neg_lo:[1,0,0] neg_hi:[1,0,0]
	v_pk_mul_f16 v21, v20, s12 op_sel_hi:[1,0]
	v_pk_add_f16 v22, v9, v5 neg_lo:[0,1] neg_hi:[0,1]
	v_pk_add_f16 v31, v7, v9 neg_lo:[0,1] neg_hi:[0,1]
	;; [unrolled: 1-line block ×3, first 2 shown]
	v_pk_add_f16 v17, v6, v7
	v_pk_add_f16 v34, v31, v32
	v_pk_add_f16 v31, v19, v21 op_sel:[0,1] op_sel_hi:[1,0]
	v_pk_add_f16 v19, v19, v21 op_sel:[0,1] op_sel_hi:[1,0] neg_lo:[0,1] neg_hi:[0,1]
	v_pk_mul_f16 v21, v22, s15 op_sel_hi:[1,0]
	s_mov_b32 s14, 0xffff
	v_pk_add_f16 v17, v17, v9
	v_pk_add_f16 v35, v31, v21 op_sel:[0,1] op_sel_hi:[1,0]
	v_pk_add_f16 v19, v19, v21 op_sel:[0,1] op_sel_hi:[1,0] neg_lo:[0,1] neg_hi:[0,1]
	s_movk_i32 s16, 0x34f2
	v_pk_add_f16 v17, v17, v5
	v_bfi_b32 v21, s14, v35, v19
	v_pk_add_f16 v10, v0, v2 neg_lo:[0,1] neg_hi:[0,1]
	v_pk_add_f16 v17, v17, v8
	v_pk_fma_f16 v21, v34, s16, v21 op_sel_hi:[1,0,1]
	s_barrier
	ds_write2_b32 v30, v17, v21 offset1:1
	v_pk_fma_f16 v17, v10, s15, v11 op_sel:[1,0,0] op_sel_hi:[0,0,1] neg_lo:[1,0,0] neg_hi:[1,0,0]
	v_pk_fma_f16 v21, v10, s15, v15 op_sel:[1,0,0] op_sel_hi:[0,0,1]
	v_bfi_b32 v17, s14, v17, v21
	v_pk_add_f16 v21, v1, v3
	v_pk_fma_f16 v21, v21, 0.5, v4 op_sel_hi:[1,0,1] neg_lo:[1,0,0] neg_hi:[1,0,0]
	v_pk_fma_f16 v31, v10, s12, v21 op_sel:[1,0,0] op_sel_hi:[0,0,1] neg_lo:[1,0,0] neg_hi:[1,0,0]
	v_pk_fma_f16 v21, v10, s12, v21 op_sel:[1,0,0] op_sel_hi:[0,0,1]
	v_pk_fma_f16 v31, v18, s15, v31 op_sel:[1,0,0] op_sel_hi:[0,0,1]
	v_pk_fma_f16 v18, v18, s15, v21 op_sel:[1,0,0] op_sel_hi:[0,0,1] neg_lo:[1,0,0] neg_hi:[1,0,0]
	v_pk_add_f16 v21, v0, v1 neg_lo:[0,1] neg_hi:[0,1]
	v_pk_add_f16 v32, v2, v3 neg_lo:[0,1] neg_hi:[0,1]
	v_pk_add_f16 v21, v21, v32
	v_bfi_b32 v32, s14, v31, v18
	v_bfi_b32 v18, s14, v18, v31
	v_pk_fma_f16 v31, v21, s16, v32 op_sel_hi:[1,0,1]
	v_pk_fma_f16 v32, v21, s16, v18 op_sel_hi:[1,0,1]
	v_pk_add_f16 v18, v7, v8
	v_pk_add_f16 v7, v9, v7 neg_lo:[0,1] neg_hi:[0,1]
	v_pk_add_f16 v5, v5, v8 neg_lo:[0,1] neg_hi:[0,1]
	v_pk_fma_f16 v6, v18, 0.5, v6 op_sel_hi:[1,0,1] neg_lo:[1,0,0] neg_hi:[1,0,0]
	v_pk_add_f16 v5, v7, v5
	v_pk_mul_f16 v7, v22, s12 op_sel_hi:[1,0]
	v_pk_fma_f16 v33, v16, s16, v17 op_sel_hi:[1,0,1]
	v_pk_mul_f16 v8, v20, s15 op_sel_hi:[1,0]
	v_pk_add_f16 v17, v6, v7 op_sel:[0,1] op_sel_hi:[1,0] neg_lo:[0,1] neg_hi:[0,1]
	v_pk_add_f16 v6, v6, v7 op_sel:[0,1] op_sel_hi:[1,0]
	v_pk_add_f16 v7, v17, v8 op_sel:[0,1] op_sel_hi:[1,0]
	v_pk_add_f16 v6, v6, v8 op_sel:[0,1] op_sel_hi:[1,0] neg_lo:[0,1] neg_hi:[0,1]
	v_bfi_b32 v8, s14, v7, v6
	v_bfi_b32 v6, s14, v6, v7
	v_pk_fma_f16 v8, v5, s16, v8 op_sel_hi:[1,0,1]
	v_pk_fma_f16 v5, v5, s16, v6 op_sel_hi:[1,0,1]
	v_add_co_u32_e32 v9, vcc, 0xf5, v27
	ds_write2_b32 v30, v8, v5 offset0:2 offset1:3
	v_bfi_b32 v5, s14, v19, v35
	v_pk_fma_f16 v5, v34, s16, v5 op_sel_hi:[1,0,1]
	v_mul_u32_u24_e32 v34, 5, v9
	ds_write_b32 v30, v5 offset:16
	s_and_saveexec_b64 s[12:13], s[0:1]
	s_cbranch_execz .LBB0_7
; %bb.6:
	v_pk_add_f16 v1, v4, v1
	v_pk_mul_f16 v5, v10, s15 op_sel:[1,0] op_sel_hi:[0,0]
	v_pk_add_f16 v0, v1, v0
	v_pk_add_f16 v0, v0, v2
	;; [unrolled: 1-line block ×3, first 2 shown]
	v_pk_add_f16 v2, v11, v5 neg_lo:[0,1] neg_hi:[0,1]
	v_pk_mul_f16 v6, v16, s16 op_sel_hi:[1,0]
	v_bfi_b32 v1, s14, v1, v2
	v_lshlrev_b32_e32 v7, 2, v34
	v_pk_add_f16 v0, v0, v3
	v_pk_add_f16 v1, v6, v1
	ds_write2_b32 v7, v0, v1 offset1:1
	ds_write2_b32 v7, v31, v32 offset0:2 offset1:3
	ds_write_b32 v7, v33 offset:16
.LBB0_7:
	s_or_b64 exec, exec, s[12:13]
	s_movk_i32 s12, 0xcd
	v_mul_lo_u16_sdwa v0, v27, s12 dst_sel:DWORD dst_unused:UNUSED_PAD src0_sel:BYTE_0 src1_sel:DWORD
	v_lshrrev_b16_e32 v10, 10, v0
	v_mul_lo_u16_e32 v0, 5, v10
	v_sub_u16_e32 v0, v27, v0
	v_and_b32_e32 v11, 0xff, v0
	v_mul_u32_u24_e32 v0, 6, v11
	v_lshlrev_b32_e32 v4, 2, v0
	s_waitcnt lgkmcnt(0)
	s_barrier
	global_load_dwordx4 v[0:3], v4, s[4:5]
	global_load_dwordx2 v[15:16], v4, s[4:5] offset:16
	v_add_u32_e32 v22, 0x780, v23
	v_add_u32_e32 v21, 0xf40, v23
	ds_read2_b32 v[4:5], v23 offset1:245
	ds_read_b32 v17, v23 offset:5880
	ds_read2_b32 v[6:7], v22 offset0:10 offset1:255
	ds_read2_b32 v[8:9], v21 offset0:4 offset1:249
	s_movk_i32 s13, 0x2b26
	s_waitcnt lgkmcnt(3)
	v_lshrrev_b32_e32 v18, 16, v5
	s_waitcnt lgkmcnt(2)
	v_lshrrev_b32_e32 v19, 16, v17
	;; [unrolled: 2-line block ×3, first 2 shown]
	v_lshrrev_b32_e32 v35, 16, v7
	s_waitcnt lgkmcnt(0)
	v_lshrrev_b32_e32 v36, 16, v8
	v_lshrrev_b32_e32 v37, 16, v9
	s_movk_i32 s12, 0x39e0
	s_mov_b32 s20, 0xb9e0
	s_movk_i32 s15, 0x3b00
	s_movk_i32 s16, 0x3574
	s_mov_b32 s21, 0xb574
	s_mov_b32 s19, 0xbcab
	s_movk_i32 s18, 0x370e
	v_mul_u32_u24_e32 v10, 35, v10
	s_waitcnt vmcnt(0)
	s_barrier
	s_movk_i32 s22, 0xeb
	v_mul_f16_sdwa v38, v20, v1 dst_sel:DWORD dst_unused:UNUSED_PAD src0_sel:DWORD src1_sel:WORD_1
	v_mul_f16_sdwa v39, v6, v1 dst_sel:DWORD dst_unused:UNUSED_PAD src0_sel:DWORD src1_sel:WORD_1
	;; [unrolled: 1-line block ×12, first 2 shown]
	v_fma_f16 v6, v6, v1, -v38
	v_fma_f16 v7, v7, v2, -v40
	;; [unrolled: 1-line block ×4, first 2 shown]
	v_fma_f16 v18, v18, v0, v46
	v_fma_f16 v20, v20, v1, v39
	;; [unrolled: 1-line block ×3, first 2 shown]
	v_fma_f16 v5, v5, v0, -v47
	v_fma_f16 v36, v36, v3, v43
	v_fma_f16 v37, v37, v15, v45
	v_fma_f16 v17, v17, v16, -v48
	v_fma_f16 v19, v19, v16, v49
	v_add_f16_e32 v38, v5, v17
	v_add_f16_e32 v39, v18, v19
	v_sub_f16_e32 v5, v5, v17
	v_sub_f16_e32 v17, v18, v19
	v_add_f16_e32 v18, v6, v9
	v_add_f16_e32 v19, v20, v37
	v_sub_f16_e32 v6, v6, v9
	v_sub_f16_e32 v9, v20, v37
	;; [unrolled: 4-line block ×4, first 2 shown]
	v_sub_f16_e32 v38, v38, v20
	v_sub_f16_e32 v39, v39, v37
	;; [unrolled: 1-line block ×4, first 2 shown]
	v_add_f16_e32 v42, v7, v6
	v_sub_f16_e32 v43, v7, v6
	v_sub_f16_e32 v6, v6, v5
	v_add_f16_e32 v20, v20, v35
	v_add_f16_e32 v35, v37, v36
	v_mul_f16_e32 v36, 0x3a52, v38
	v_mul_f16_e32 v37, 0x2b26, v18
	;; [unrolled: 1-line block ×4, first 2 shown]
	v_sub_f16_e32 v7, v5, v7
	v_sub_f16_e32 v45, v8, v9
	v_fma_f16 v18, v18, s13, v36
	v_fma_f16 v37, v40, s12, -v37
	v_fma_f16 v36, v40, s20, -v36
	v_fma_f16 v19, v19, s13, v38
	v_fma_f16 v39, v41, s12, -v39
	v_fma_f16 v38, v41, s20, -v38
	v_mul_f16_e32 v40, 0xb846, v43
	v_mul_f16_e32 v41, 0x3b00, v6
	v_add_f16_e32 v44, v8, v9
	v_sub_f16_e32 v8, v17, v8
	v_sub_f16_e32 v9, v9, v17
	v_add_f16_e32 v5, v42, v5
	v_add_f16_e32 v42, v4, v20
	v_add_f16_sdwa v4, v4, v35 dst_sel:DWORD dst_unused:UNUSED_PAD src0_sel:WORD_1 src1_sel:DWORD
	v_fma_f16 v6, v6, s15, -v40
	v_fma_f16 v40, v7, s16, v40
	v_fma_f16 v7, v7, s21, -v41
	v_mul_f16_e32 v41, 0xb846, v45
	v_add_f16_e32 v17, v44, v17
	v_mul_f16_e32 v43, 0x3b00, v9
	v_fma_f16 v9, v9, s15, -v41
	v_fma_f16 v41, v8, s16, v41
	v_fma_f16 v20, v20, s19, v42
	v_fma_f16 v35, v35, s19, v4
	v_fma_f16 v8, v8, s21, -v43
	v_add_f16_e32 v18, v18, v20
	v_add_f16_e32 v19, v19, v35
	;; [unrolled: 1-line block ×6, first 2 shown]
	v_fma_f16 v36, v5, s18, v40
	v_fma_f16 v38, v17, s18, v41
	;; [unrolled: 1-line block ×6, first 2 shown]
	v_add_f16_e32 v8, v38, v18
	v_sub_f16_e32 v17, v19, v36
	v_add_f16_e32 v40, v7, v20
	v_sub_f16_e32 v41, v37, v9
	v_add_f16_e32 v9, v9, v37
	v_add_f16_e32 v37, v6, v39
	v_sub_f16_e32 v6, v39, v6
	v_sub_f16_e32 v39, v35, v5
	v_add_f16_e32 v5, v5, v35
	v_add_lshl_u32 v35, v10, v11, 2
	v_pack_b32_f16 v4, v42, v4
	v_pack_b32_f16 v8, v8, v17
	v_sub_f16_e32 v7, v20, v7
	ds_write2_b32 v35, v4, v8 offset1:5
	v_pack_b32_f16 v4, v40, v39
	v_pack_b32_f16 v8, v41, v37
	v_sub_f16_e32 v18, v18, v38
	v_add_f16_e32 v19, v36, v19
	ds_write2_b32 v35, v4, v8 offset0:10 offset1:15
	v_pack_b32_f16 v4, v9, v6
	v_pack_b32_f16 v5, v7, v5
	ds_write2_b32 v35, v4, v5 offset0:20 offset1:25
	v_pack_b32_f16 v4, v18, v19
	ds_write_b32 v35, v4 offset:120
	v_mul_lo_u16_sdwa v4, v27, s22 dst_sel:DWORD dst_unused:UNUSED_PAD src0_sel:BYTE_0 src1_sel:DWORD
	v_lshrrev_b16_e32 v19, 13, v4
	v_mul_lo_u16_e32 v4, 35, v19
	v_sub_u16_e32 v4, v27, v4
	v_and_b32_e32 v20, 0xff, v4
	v_mad_u64_u32 v[8:9], s[22:23], v20, 24, s[4:5]
	s_waitcnt lgkmcnt(0)
	s_barrier
	global_load_dwordx4 v[4:7], v[8:9], off offset:120
	global_load_dwordx2 v[17:18], v[8:9], off offset:136
	ds_read2_b32 v[8:9], v22 offset0:10 offset1:255
	ds_read2_b32 v[10:11], v21 offset0:4 offset1:249
	ds_read_b32 v36, v23 offset:5880
	v_mul_u32_u24_e32 v19, 0xf5, v19
	s_waitcnt lgkmcnt(2)
	v_lshrrev_b32_e32 v37, 16, v8
	s_waitcnt lgkmcnt(1)
	v_lshrrev_b32_e32 v39, 16, v10
	v_lshrrev_b32_e32 v40, 16, v11
	;; [unrolled: 1-line block ×3, first 2 shown]
	s_waitcnt vmcnt(1)
	v_mul_f16_sdwa v41, v37, v5 dst_sel:DWORD dst_unused:UNUSED_PAD src0_sel:DWORD src1_sel:WORD_1
	v_mul_f16_sdwa v42, v8, v5 dst_sel:DWORD dst_unused:UNUSED_PAD src0_sel:DWORD src1_sel:WORD_1
	v_fma_f16 v41, v8, v5, -v41
	v_mul_f16_sdwa v8, v39, v7 dst_sel:DWORD dst_unused:UNUSED_PAD src0_sel:DWORD src1_sel:WORD_1
	v_fma_f16 v37, v37, v5, v42
	v_fma_f16 v42, v10, v7, -v8
	v_mul_f16_sdwa v8, v10, v7 dst_sel:DWORD dst_unused:UNUSED_PAD src0_sel:DWORD src1_sel:WORD_1
	v_fma_f16 v10, v39, v7, v8
	s_waitcnt vmcnt(0)
	v_mul_f16_sdwa v8, v40, v17 dst_sel:DWORD dst_unused:UNUSED_PAD src0_sel:DWORD src1_sel:WORD_1
	v_mul_f16_sdwa v43, v38, v6 dst_sel:DWORD dst_unused:UNUSED_PAD src0_sel:DWORD src1_sel:WORD_1
	v_fma_f16 v39, v11, v17, -v8
	v_mul_f16_sdwa v8, v11, v17 dst_sel:DWORD dst_unused:UNUSED_PAD src0_sel:DWORD src1_sel:WORD_1
	v_mul_f16_sdwa v44, v9, v6 dst_sel:DWORD dst_unused:UNUSED_PAD src0_sel:DWORD src1_sel:WORD_1
	v_fma_f16 v43, v9, v6, -v43
	v_fma_f16 v40, v40, v17, v8
	ds_read2_b32 v[8:9], v23 offset1:245
	s_waitcnt lgkmcnt(1)
	v_lshrrev_b32_e32 v11, 16, v36
	v_fma_f16 v38, v38, v6, v44
	v_mul_f16_sdwa v44, v11, v18 dst_sel:DWORD dst_unused:UNUSED_PAD src0_sel:DWORD src1_sel:WORD_1
	v_fma_f16 v44, v36, v18, -v44
	v_mul_f16_sdwa v36, v36, v18 dst_sel:DWORD dst_unused:UNUSED_PAD src0_sel:DWORD src1_sel:WORD_1
	v_fma_f16 v11, v11, v18, v36
	s_waitcnt lgkmcnt(0)
	v_lshrrev_b32_e32 v36, 16, v9
	v_mul_f16_sdwa v45, v9, v4 dst_sel:DWORD dst_unused:UNUSED_PAD src0_sel:DWORD src1_sel:WORD_1
	v_fma_f16 v45, v36, v4, v45
	v_mul_f16_sdwa v36, v36, v4 dst_sel:DWORD dst_unused:UNUSED_PAD src0_sel:DWORD src1_sel:WORD_1
	v_fma_f16 v9, v9, v4, -v36
	v_add_f16_e32 v36, v9, v44
	v_sub_f16_e32 v9, v9, v44
	v_add_f16_e32 v44, v45, v11
	v_sub_f16_e32 v11, v45, v11
	;; [unrolled: 2-line block ×7, first 2 shown]
	v_sub_f16_e32 v36, v36, v40
	v_sub_f16_e32 v45, v40, v45
	v_add_f16_e32 v38, v40, v38
	v_add_f16_e32 v40, v41, v44
	v_sub_f16_e32 v47, v41, v44
	v_sub_f16_e32 v44, v44, v43
	;; [unrolled: 1-line block ×3, first 2 shown]
	v_add_f16_e32 v40, v43, v40
	v_add_f16_e32 v43, v42, v39
	v_mul_f16_e32 v36, 0x3a52, v36
	v_mul_f16_e32 v50, 0x2b26, v45
	v_sub_f16_e32 v48, v42, v39
	v_sub_f16_e32 v42, v9, v42
	v_sub_f16_e32 v39, v39, v9
	v_add_f16_e32 v9, v43, v9
	v_add_f16_e32 v43, v10, v37
	v_fma_f16 v45, v45, s13, v36
	v_fma_f16 v50, v46, s12, -v50
	v_fma_f16 v36, v46, s20, -v36
	v_mul_f16_e32 v44, 0x3a52, v44
	v_mul_f16_e32 v46, 0x2b26, v41
	v_sub_f16_e32 v49, v10, v37
	v_sub_f16_e32 v10, v11, v10
	;; [unrolled: 1-line block ×3, first 2 shown]
	v_add_f16_e32 v11, v43, v11
	v_add_f16_e32 v43, v8, v38
	v_fma_f16 v41, v41, s13, v44
	v_fma_f16 v46, v47, s12, -v46
	v_fma_f16 v44, v47, s20, -v44
	v_mul_f16_e32 v47, 0xb846, v48
	v_mul_f16_e32 v48, 0x3b00, v39
	v_add_f16_sdwa v8, v8, v40 dst_sel:DWORD dst_unused:UNUSED_PAD src0_sel:WORD_1 src1_sel:DWORD
	v_fma_f16 v39, v39, s15, -v47
	v_fma_f16 v47, v42, s16, v47
	v_fma_f16 v42, v42, s21, -v48
	v_mul_f16_e32 v48, 0xb846, v49
	v_mul_f16_e32 v49, 0x3b00, v37
	v_fma_f16 v38, v38, s19, v43
	v_fma_f16 v37, v37, s15, -v48
	v_fma_f16 v48, v10, s16, v48
	v_fma_f16 v10, v10, s21, -v49
	v_add_f16_e32 v45, v45, v38
	v_add_f16_e32 v49, v50, v38
	;; [unrolled: 1-line block ×3, first 2 shown]
	v_fma_f16 v38, v40, s19, v8
	v_add_f16_e32 v40, v41, v38
	v_add_f16_e32 v41, v46, v38
	;; [unrolled: 1-line block ×3, first 2 shown]
	v_fma_f16 v44, v9, s18, v47
	v_fma_f16 v39, v9, s18, v39
	;; [unrolled: 1-line block ×6, first 2 shown]
	v_sub_f16_e32 v47, v38, v9
	v_add_f16_e32 v9, v9, v38
	v_add_f16_e32 v38, v42, v45
	v_sub_f16_e32 v42, v45, v42
	v_sub_f16_e32 v45, v40, v44
	;; [unrolled: 1-line block ×3, first 2 shown]
	v_add_f16_e32 v46, v39, v41
	v_sub_f16_e32 v39, v41, v39
	v_add_f16_e32 v41, v10, v36
	v_sub_f16_e32 v10, v36, v10
	v_add_lshl_u32 v36, v19, v20, 2
	v_pack_b32_f16 v8, v43, v8
	v_pack_b32_f16 v19, v38, v45
	v_add_f16_e32 v37, v37, v49
	s_barrier
	ds_write2_b32 v36, v8, v19 offset1:35
	v_pack_b32_f16 v8, v41, v47
	v_pack_b32_f16 v11, v11, v46
	ds_write2_b32 v36, v8, v11 offset0:70 offset1:105
	v_pack_b32_f16 v8, v37, v39
	v_mad_u64_u32 v[37:38], s[4:5], v27, 24, s[4:5]
	v_add_f16_e32 v40, v44, v40
	v_pack_b32_f16 v9, v10, v9
	ds_write2_b32 v36, v8, v9 offset0:140 offset1:175
	v_pack_b32_f16 v8, v42, v40
	ds_write_b32 v36, v8 offset:840
	s_waitcnt lgkmcnt(0)
	s_barrier
	global_load_dwordx4 v[8:11], v[37:38], off offset:960
	global_load_dwordx2 v[19:20], v[37:38], off offset:976
	ds_read2_b32 v[37:38], v22 offset0:10 offset1:255
	ds_read_b32 v46, v23 offset:5880
	s_mov_b32 s5, 0xb846
	s_movk_i32 s4, 0x3a52
	s_waitcnt lgkmcnt(1)
	v_lshrrev_b32_e32 v39, 16, v37
	v_lshrrev_b32_e32 v41, 16, v38
	s_waitcnt lgkmcnt(0)
	v_lshrrev_b32_e32 v48, 16, v46
	s_waitcnt vmcnt(1)
	v_mul_f16_sdwa v40, v39, v9 dst_sel:DWORD dst_unused:UNUSED_PAD src0_sel:DWORD src1_sel:WORD_1
	v_fma_f16 v42, v37, v9, -v40
	v_mul_f16_sdwa v37, v37, v9 dst_sel:DWORD dst_unused:UNUSED_PAD src0_sel:DWORD src1_sel:WORD_1
	v_fma_f16 v43, v39, v9, v37
	ds_read2_b32 v[39:40], v21 offset0:4 offset1:249
	v_mul_f16_sdwa v37, v41, v10 dst_sel:DWORD dst_unused:UNUSED_PAD src0_sel:DWORD src1_sel:WORD_1
	v_fma_f16 v44, v38, v10, -v37
	v_mul_f16_sdwa v37, v38, v10 dst_sel:DWORD dst_unused:UNUSED_PAD src0_sel:DWORD src1_sel:WORD_1
	v_fma_f16 v41, v41, v10, v37
	s_waitcnt lgkmcnt(0)
	v_lshrrev_b32_e32 v37, 16, v39
	v_mul_f16_sdwa v38, v39, v11 dst_sel:DWORD dst_unused:UNUSED_PAD src0_sel:DWORD src1_sel:WORD_1
	v_fma_f16 v45, v37, v11, v38
	v_mul_f16_sdwa v37, v37, v11 dst_sel:DWORD dst_unused:UNUSED_PAD src0_sel:DWORD src1_sel:WORD_1
	v_fma_f16 v39, v39, v11, -v37
	v_lshrrev_b32_e32 v37, 16, v40
	s_waitcnt vmcnt(0)
	v_mul_f16_sdwa v38, v37, v19 dst_sel:DWORD dst_unused:UNUSED_PAD src0_sel:DWORD src1_sel:WORD_1
	v_fma_f16 v47, v40, v19, -v38
	v_mul_f16_sdwa v38, v40, v19 dst_sel:DWORD dst_unused:UNUSED_PAD src0_sel:DWORD src1_sel:WORD_1
	v_fma_f16 v40, v37, v19, v38
	ds_read2_b32 v[37:38], v23 offset1:245
	v_mul_f16_sdwa v49, v48, v20 dst_sel:DWORD dst_unused:UNUSED_PAD src0_sel:DWORD src1_sel:WORD_1
	v_fma_f16 v49, v46, v20, -v49
	v_mul_f16_sdwa v46, v46, v20 dst_sel:DWORD dst_unused:UNUSED_PAD src0_sel:DWORD src1_sel:WORD_1
	v_fma_f16 v46, v48, v20, v46
	s_waitcnt lgkmcnt(0)
	v_lshrrev_b32_e32 v48, 16, v38
	v_mul_f16_sdwa v50, v38, v8 dst_sel:DWORD dst_unused:UNUSED_PAD src0_sel:DWORD src1_sel:WORD_1
	v_fma_f16 v50, v48, v8, v50
	v_mul_f16_sdwa v48, v48, v8 dst_sel:DWORD dst_unused:UNUSED_PAD src0_sel:DWORD src1_sel:WORD_1
	v_fma_f16 v38, v38, v8, -v48
	v_pack_b32_f16 v38, v38, v50
	v_pack_b32_f16 v46, v49, v46
	;; [unrolled: 1-line block ×4, first 2 shown]
	v_pk_add_f16 v48, v38, v46
	v_pk_add_f16 v43, v42, v40
	v_pk_add_f16 v38, v38, v46 neg_lo:[0,1] neg_hi:[0,1]
	v_pk_add_f16 v40, v42, v40 neg_lo:[0,1] neg_hi:[0,1]
	v_pack_b32_f16 v42, v45, v39
	v_pack_b32_f16 v46, v41, v44
	v_pack_b32_f16 v41, v48, v41
	v_pack_b32_f16 v45, v43, v45
	v_bfi_b32 v44, s14, v44, v48
	v_bfi_b32 v39, s14, v39, v43
	v_pk_add_f16 v41, v41, v45
	v_pk_add_f16 v39, v44, v39
	v_pk_add_f16 v42, v42, v46 neg_lo:[0,1] neg_hi:[0,1]
	v_bfi_b32 v44, s14, v39, v41
	v_pk_add_f16 v39, v41, v39
	v_pk_add_f16 v41, v42, v40 op_sel:[0,1] op_sel_hi:[1,0]
	v_pk_add_f16 v45, v48, v44 neg_lo:[0,1] neg_hi:[0,1]
	v_pk_add_f16 v44, v44, v43 neg_lo:[0,1] neg_hi:[0,1]
	v_pk_add_f16 v46, v38, v42 op_sel:[1,0] op_sel_hi:[0,1] neg_lo:[0,1] neg_hi:[0,1]
	v_pk_add_f16 v42, v42, v40 op_sel:[0,1] op_sel_hi:[1,0] neg_lo:[0,1] neg_hi:[0,1]
	v_pk_add_f16 v37, v37, v39
	v_pk_mul_f16 v44, v44, s13 op_sel_hi:[1,0]
	v_pk_mul_f16 v42, v42, s5 op_sel_hi:[1,0]
	v_pk_add_f16 v41, v41, v38 op_sel:[0,1] op_sel_hi:[1,0]
	v_pk_fma_f16 v39, v39, s19, v37 op_sel_hi:[1,0,1]
	v_pk_fma_f16 v47, v45, s4, v44 op_sel_hi:[1,0,1]
	v_pk_fma_f16 v49, v46, s16, v42 op_sel_hi:[1,0,1]
	v_pk_add_f16 v47, v47, v39
	v_pk_fma_f16 v49, v41, s18, v49 op_sel_hi:[1,0,1]
	v_pk_add_f16 v50, v47, v49 neg_lo:[0,1] neg_hi:[0,1]
	v_pk_add_f16 v47, v47, v49
	v_bfi_b32 v49, s14, v47, v50
	v_pk_add_f16 v38, v40, v38 op_sel:[1,1] op_sel_hi:[0,0] neg_lo:[0,1] neg_hi:[0,1]
	ds_write2_b32 v23, v37, v49 offset1:245
	v_pk_add_f16 v37, v43, v48 neg_lo:[0,1] neg_hi:[0,1]
	v_pk_mul_f16 v40, v38, s15 op_sel_hi:[1,0]
	v_pk_mul_f16 v43, v45, s4 op_sel_hi:[1,0]
	v_pk_fma_f16 v40, v46, s16, v40 op_sel_hi:[1,0,1] neg_lo:[1,0,1] neg_hi:[1,0,1]
	v_pk_fma_f16 v43, v37, s12, v43 op_sel_hi:[1,0,1] neg_lo:[1,0,1] neg_hi:[1,0,1]
	;; [unrolled: 1-line block ×4, first 2 shown]
	v_pk_add_f16 v43, v43, v39
	v_pk_fma_f16 v40, v41, s18, v40 op_sel_hi:[1,0,1]
	v_pk_add_f16 v37, v37, v39
	v_pk_fma_f16 v38, v41, s18, v38 op_sel_hi:[1,0,1]
	v_pk_add_f16 v45, v43, v40 neg_lo:[0,1] neg_hi:[0,1]
	v_pk_add_f16 v40, v43, v40
	v_pk_add_f16 v39, v37, v38 neg_lo:[0,1] neg_hi:[0,1]
	v_pk_add_f16 v41, v37, v38
	v_bfi_b32 v37, s14, v40, v45
	v_bfi_b32 v38, s14, v39, v41
	ds_write2_b32 v22, v37, v38 offset0:10 offset1:255
	v_mov_b32_e32 v22, s17
	v_addc_co_u32_e64 v42, vcc, 0, v22, s[2:3]
	v_bfi_b32 v37, s14, v45, v40
	v_bfi_b32 v22, s14, v41, v39
	s_movk_i32 s4, 0x1000
	v_bfi_b32 v38, s14, v50, v47
	ds_write2_b32 v21, v22, v37 offset0:4 offset1:249
	ds_write_b32 v23, v38 offset:5880
	v_add_co_u32_e32 v21, vcc, s4, v12
	v_addc_co_u32_e32 v22, vcc, 0, v42, vcc
	s_waitcnt lgkmcnt(0)
	s_barrier
	global_load_dword v43, v[21:22], off offset:2764
	s_movk_i32 s2, 0x1acc
	v_add_co_u32_e32 v21, vcc, s2, v12
	v_addc_co_u32_e32 v22, vcc, 0, v42, vcc
	s_movk_i32 s2, 0x2000
	global_load_dword v44, v[21:22], off offset:1372
	v_add_co_u32_e32 v39, vcc, s2, v12
	v_addc_co_u32_e32 v40, vcc, 0, v42, vcc
	v_add_co_u32_e32 v41, vcc, 0x3000, v12
	v_addc_co_u32_e32 v42, vcc, 0, v42, vcc
	global_load_dword v45, v[39:40], off offset:2784
	global_load_dword v46, v[41:42], off offset:60
	;; [unrolled: 1-line block ×3, first 2 shown]
	ds_read_b32 v39, v23
	ds_read_b32 v40, v23 offset:1372
	ds_read_b32 v41, v23 offset:2744
	ds_read_b32 v42, v23 offset:4116
	ds_read_b32 v48, v23 offset:5488
	s_waitcnt lgkmcnt(4)
	v_lshrrev_b32_e32 v49, 16, v39
	s_waitcnt vmcnt(4)
	v_mul_f16_sdwa v50, v49, v43 dst_sel:DWORD dst_unused:UNUSED_PAD src0_sel:DWORD src1_sel:WORD_1
	v_fma_f16 v50, v39, v43, -v50
	v_mul_f16_sdwa v39, v39, v43 dst_sel:DWORD dst_unused:UNUSED_PAD src0_sel:DWORD src1_sel:WORD_1
	v_fma_f16 v39, v49, v43, v39
	s_waitcnt lgkmcnt(3)
	v_lshrrev_b32_e32 v43, 16, v40
	v_pack_b32_f16 v39, v50, v39
	ds_write_b32 v23, v39
	s_waitcnt vmcnt(3)
	v_mul_f16_sdwa v49, v43, v44 dst_sel:DWORD dst_unused:UNUSED_PAD src0_sel:DWORD src1_sel:WORD_1
	v_fma_f16 v49, v40, v44, -v49
	v_mul_f16_sdwa v40, v40, v44 dst_sel:DWORD dst_unused:UNUSED_PAD src0_sel:DWORD src1_sel:WORD_1
	v_fma_f16 v40, v43, v44, v40
	s_waitcnt lgkmcnt(3)
	v_lshrrev_b32_e32 v43, 16, v41
	v_pack_b32_f16 v39, v49, v40
	ds_write_b32 v23, v39 offset:1372
	s_waitcnt vmcnt(0)
	v_mul_f16_sdwa v44, v43, v47 dst_sel:DWORD dst_unused:UNUSED_PAD src0_sel:DWORD src1_sel:WORD_1
	v_fma_f16 v44, v41, v47, -v44
	v_mul_f16_sdwa v41, v41, v47 dst_sel:DWORD dst_unused:UNUSED_PAD src0_sel:DWORD src1_sel:WORD_1
	v_fma_f16 v41, v43, v47, v41
	s_waitcnt lgkmcnt(3)
	v_lshrrev_b32_e32 v43, 16, v42
	v_mul_f16_sdwa v47, v43, v45 dst_sel:DWORD dst_unused:UNUSED_PAD src0_sel:DWORD src1_sel:WORD_1
	v_fma_f16 v47, v42, v45, -v47
	v_mul_f16_sdwa v42, v42, v45 dst_sel:DWORD dst_unused:UNUSED_PAD src0_sel:DWORD src1_sel:WORD_1
	v_fma_f16 v42, v43, v45, v42
	v_pack_b32_f16 v39, v44, v41
	ds_write_b32 v23, v39 offset:2744
	v_pack_b32_f16 v39, v47, v42
	ds_write_b32 v23, v39 offset:4116
	s_waitcnt lgkmcnt(4)
	v_lshrrev_b32_e32 v39, 16, v48
	v_mul_f16_sdwa v40, v39, v46 dst_sel:DWORD dst_unused:UNUSED_PAD src0_sel:DWORD src1_sel:WORD_1
	v_mul_f16_sdwa v41, v48, v46 dst_sel:DWORD dst_unused:UNUSED_PAD src0_sel:DWORD src1_sel:WORD_1
	v_fma_f16 v40, v48, v46, -v40
	v_fma_f16 v39, v39, v46, v41
	v_pack_b32_f16 v39, v40, v39
	ds_write_b32 v23, v39 offset:5488
	s_and_saveexec_b64 s[2:3], s[0:1]
	s_cbranch_execz .LBB0_9
; %bb.8:
	global_load_dword v39, v[21:22], off offset:980
	global_load_dword v40, v[21:22], off offset:2352
	;; [unrolled: 1-line block ×3, first 2 shown]
	v_add_co_u32_e32 v21, vcc, s4, v21
	v_addc_co_u32_e32 v22, vcc, 0, v22, vcc
	global_load_dword v42, v[21:22], off offset:1000
	global_load_dword v43, v[21:22], off offset:2372
	ds_read_b32 v21, v23 offset:980
	ds_read_b32 v22, v23 offset:2352
	ds_read_b32 v44, v23 offset:3724
	ds_read_b32 v45, v23 offset:5096
	ds_read_b32 v46, v23 offset:6468
	s_waitcnt lgkmcnt(4)
	v_lshrrev_b32_e32 v47, 16, v21
	s_waitcnt lgkmcnt(3)
	v_lshrrev_b32_e32 v48, 16, v22
	s_waitcnt lgkmcnt(2)
	v_lshrrev_b32_e32 v49, 16, v44
	s_waitcnt lgkmcnt(1)
	v_lshrrev_b32_e32 v50, 16, v45
	s_waitcnt lgkmcnt(0)
	v_lshrrev_b32_e32 v51, 16, v46
	s_waitcnt vmcnt(4)
	v_mul_f16_sdwa v52, v47, v39 dst_sel:DWORD dst_unused:UNUSED_PAD src0_sel:DWORD src1_sel:WORD_1
	v_mul_f16_sdwa v53, v21, v39 dst_sel:DWORD dst_unused:UNUSED_PAD src0_sel:DWORD src1_sel:WORD_1
	s_waitcnt vmcnt(3)
	v_mul_f16_sdwa v54, v48, v40 dst_sel:DWORD dst_unused:UNUSED_PAD src0_sel:DWORD src1_sel:WORD_1
	v_mul_f16_sdwa v55, v22, v40 dst_sel:DWORD dst_unused:UNUSED_PAD src0_sel:DWORD src1_sel:WORD_1
	s_waitcnt vmcnt(2)
	v_mul_f16_sdwa v56, v49, v41 dst_sel:DWORD dst_unused:UNUSED_PAD src0_sel:DWORD src1_sel:WORD_1
	v_mul_f16_sdwa v57, v44, v41 dst_sel:DWORD dst_unused:UNUSED_PAD src0_sel:DWORD src1_sel:WORD_1
	v_fma_f16 v21, v21, v39, -v52
	v_fma_f16 v39, v47, v39, v53
	v_fma_f16 v22, v22, v40, -v54
	v_fma_f16 v40, v48, v40, v55
	;; [unrolled: 2-line block ×3, first 2 shown]
	s_waitcnt vmcnt(1)
	v_mul_f16_sdwa v47, v50, v42 dst_sel:DWORD dst_unused:UNUSED_PAD src0_sel:DWORD src1_sel:WORD_1
	v_mul_f16_sdwa v48, v45, v42 dst_sel:DWORD dst_unused:UNUSED_PAD src0_sel:DWORD src1_sel:WORD_1
	s_waitcnt vmcnt(0)
	v_mul_f16_sdwa v49, v51, v43 dst_sel:DWORD dst_unused:UNUSED_PAD src0_sel:DWORD src1_sel:WORD_1
	v_mul_f16_sdwa v52, v46, v43 dst_sel:DWORD dst_unused:UNUSED_PAD src0_sel:DWORD src1_sel:WORD_1
	v_pack_b32_f16 v21, v21, v39
	v_pack_b32_f16 v22, v22, v40
	;; [unrolled: 1-line block ×3, first 2 shown]
	v_fma_f16 v40, v45, v42, -v47
	v_fma_f16 v41, v50, v42, v48
	v_fma_f16 v42, v46, v43, -v49
	v_fma_f16 v43, v51, v43, v52
	ds_write_b32 v23, v21 offset:980
	ds_write_b32 v23, v22 offset:2352
	;; [unrolled: 1-line block ×3, first 2 shown]
	v_pack_b32_f16 v21, v40, v41
	v_pack_b32_f16 v22, v42, v43
	ds_write_b32 v23, v21 offset:5096
	ds_write_b32 v23, v22 offset:6468
.LBB0_9:
	s_or_b64 exec, exec, s[2:3]
	s_waitcnt lgkmcnt(0)
	s_barrier
	ds_read_b32 v21, v23
	ds_read_b32 v22, v23 offset:1372
	ds_read_b32 v39, v23 offset:2744
	;; [unrolled: 1-line block ×4, first 2 shown]
	s_and_saveexec_b64 s[2:3], s[0:1]
	s_cbranch_execz .LBB0_11
; %bb.10:
	ds_read_b32 v37, v23 offset:980
	ds_read_b32 v38, v23 offset:2352
	;; [unrolled: 1-line block ×5, first 2 shown]
.LBB0_11:
	s_or_b64 exec, exec, s[2:3]
	s_waitcnt lgkmcnt(1)
	v_pk_add_f16 v43, v39, v40
	s_waitcnt lgkmcnt(0)
	v_pk_add_f16 v44, v22, v41 neg_lo:[0,1] neg_hi:[0,1]
	s_movk_i32 s4, 0x3b9c
	v_pk_fma_f16 v43, v43, 0.5, v21 op_sel_hi:[1,0,1] neg_lo:[1,0,0] neg_hi:[1,0,0]
	v_pk_mul_f16 v45, v44, s4 op_sel_hi:[1,0]
	v_pk_add_f16 v46, v39, v40 neg_lo:[0,1] neg_hi:[0,1]
	s_movk_i32 s12, 0x38b4
	v_pk_add_f16 v48, v22, v39 neg_lo:[0,1] neg_hi:[0,1]
	v_pk_add_f16 v49, v41, v40 neg_lo:[0,1] neg_hi:[0,1]
	v_pk_add_f16 v42, v21, v22
	v_pk_mul_f16 v47, v46, s12 op_sel_hi:[1,0]
	v_pk_add_f16 v48, v48, v49
	v_pk_add_f16 v49, v43, v45 op_sel:[0,1] op_sel_hi:[1,0] neg_lo:[0,1] neg_hi:[0,1]
	v_pk_add_f16 v43, v43, v45 op_sel:[0,1] op_sel_hi:[1,0]
	v_pk_add_f16 v42, v42, v39
	v_pk_add_f16 v45, v49, v47 op_sel:[0,1] op_sel_hi:[1,0] neg_lo:[0,1] neg_hi:[0,1]
	s_mov_b32 s5, 0xffff
	v_pk_add_f16 v43, v43, v47 op_sel:[0,1] op_sel_hi:[1,0]
	v_pk_add_f16 v42, v42, v40
	v_bfi_b32 v47, s5, v45, v43
	s_movk_i32 s13, 0x34f2
	v_pk_add_f16 v42, v42, v41
	v_pk_fma_f16 v47, v48, s13, v47 op_sel_hi:[1,0,1]
	s_barrier
	ds_write2_b32 v30, v42, v47 offset1:1
	v_pk_add_f16 v42, v22, v41
	v_pk_add_f16 v22, v39, v22 neg_lo:[0,1] neg_hi:[0,1]
	v_pk_add_f16 v39, v40, v41 neg_lo:[0,1] neg_hi:[0,1]
	v_pk_fma_f16 v21, v42, 0.5, v21 op_sel_hi:[1,0,1] neg_lo:[1,0,0] neg_hi:[1,0,0]
	v_pk_add_f16 v22, v22, v39
	v_pk_mul_f16 v39, v46, s4 op_sel_hi:[1,0]
	v_pk_mul_f16 v40, v44, s12 op_sel_hi:[1,0]
	v_pk_add_f16 v41, v21, v39 op_sel:[0,1] op_sel_hi:[1,0]
	v_pk_add_f16 v21, v21, v39 op_sel:[0,1] op_sel_hi:[1,0] neg_lo:[0,1] neg_hi:[0,1]
	v_pk_add_f16 v39, v41, v40 op_sel:[0,1] op_sel_hi:[1,0] neg_lo:[0,1] neg_hi:[0,1]
	v_pk_add_f16 v21, v21, v40 op_sel:[0,1] op_sel_hi:[1,0]
	v_bfi_b32 v40, s5, v39, v21
	v_bfi_b32 v21, s5, v21, v39
	v_pk_fma_f16 v40, v22, s13, v40 op_sel_hi:[1,0,1]
	v_pk_fma_f16 v21, v22, s13, v21 op_sel_hi:[1,0,1]
	ds_write2_b32 v30, v40, v21 offset0:2 offset1:3
	v_bfi_b32 v21, s5, v43, v45
	v_pk_fma_f16 v21, v48, s13, v21 op_sel_hi:[1,0,1]
	ds_write_b32 v30, v21 offset:16
	s_and_saveexec_b64 s[2:3], s[0:1]
	s_cbranch_execz .LBB0_13
; %bb.12:
	v_lshlrev_b32_e32 v22, 2, v34
	v_pk_add_f16 v34, v38, v33 neg_lo:[0,1] neg_hi:[0,1]
	v_pk_add_f16 v39, v31, v32
	v_pk_add_f16 v30, v31, v32 neg_lo:[0,1] neg_hi:[0,1]
	v_pk_fma_f16 v39, v39, 0.5, v37 op_sel_hi:[1,0,1] neg_lo:[1,0,0] neg_hi:[1,0,0]
	v_pk_mul_f16 v40, v34, s4 op_sel_hi:[1,0]
	v_pk_add_f16 v42, v38, v31 neg_lo:[0,1] neg_hi:[0,1]
	v_pk_add_f16 v43, v33, v32 neg_lo:[0,1] neg_hi:[0,1]
	v_pk_add_f16 v21, v37, v38
	v_pk_mul_f16 v41, v30, s12 op_sel_hi:[1,0]
	v_pk_add_f16 v42, v42, v43
	v_pk_add_f16 v43, v39, v40 op_sel:[0,1] op_sel_hi:[1,0] neg_lo:[0,1] neg_hi:[0,1]
	v_pk_add_f16 v39, v39, v40 op_sel:[0,1] op_sel_hi:[1,0]
	v_pk_add_f16 v21, v21, v31
	v_pk_add_f16 v40, v43, v41 op_sel:[0,1] op_sel_hi:[1,0] neg_lo:[0,1] neg_hi:[0,1]
	v_pk_add_f16 v39, v39, v41 op_sel:[0,1] op_sel_hi:[1,0]
	v_pk_add_f16 v21, v21, v32
	v_bfi_b32 v41, s5, v40, v39
	v_pk_add_f16 v21, v21, v33
	v_pk_fma_f16 v41, v42, s13, v41 op_sel_hi:[1,0,1]
	ds_write2_b32 v22, v21, v41 offset1:1
	v_pk_add_f16 v21, v31, v38 neg_lo:[0,1] neg_hi:[0,1]
	v_pk_add_f16 v31, v32, v33 neg_lo:[0,1] neg_hi:[0,1]
	v_pk_add_f16 v21, v21, v31
	v_pk_add_f16 v31, v38, v33
	v_pk_fma_f16 v31, v31, 0.5, v37 op_sel_hi:[1,0,1] neg_lo:[1,0,0] neg_hi:[1,0,0]
	v_pk_mul_f16 v30, v30, s4 op_sel_hi:[1,0]
	v_pk_mul_f16 v32, v34, s12 op_sel_hi:[1,0]
	v_pk_add_f16 v33, v31, v30 op_sel:[0,1] op_sel_hi:[1,0]
	v_pk_add_f16 v30, v31, v30 op_sel:[0,1] op_sel_hi:[1,0] neg_lo:[0,1] neg_hi:[0,1]
	v_pk_add_f16 v31, v33, v32 op_sel:[0,1] op_sel_hi:[1,0] neg_lo:[0,1] neg_hi:[0,1]
	v_pk_add_f16 v30, v30, v32 op_sel:[0,1] op_sel_hi:[1,0]
	v_bfi_b32 v32, s5, v31, v30
	v_bfi_b32 v30, s5, v30, v31
	v_pk_fma_f16 v32, v21, s13, v32 op_sel_hi:[1,0,1]
	v_pk_fma_f16 v21, v21, s13, v30 op_sel_hi:[1,0,1]
	ds_write2_b32 v22, v32, v21 offset0:2 offset1:3
	v_bfi_b32 v21, s5, v39, v40
	v_pk_fma_f16 v21, v42, s13, v21 op_sel_hi:[1,0,1]
	ds_write_b32 v22, v21 offset:16
.LBB0_13:
	s_or_b64 exec, exec, s[2:3]
	s_waitcnt lgkmcnt(0)
	s_barrier
	ds_read2_b32 v[21:22], v23 offset1:245
	v_add_u32_e32 v34, 0x780, v23
	ds_read2_b32 v[30:31], v34 offset0:10 offset1:255
	v_add_u32_e32 v37, 0xf40, v23
	ds_read2_b32 v[32:33], v37 offset0:4 offset1:249
	s_waitcnt lgkmcnt(2)
	v_lshrrev_b32_e32 v38, 16, v22
	v_mul_f16_sdwa v45, v0, v38 dst_sel:DWORD dst_unused:UNUSED_PAD src0_sel:WORD_1 src1_sel:DWORD
	s_waitcnt lgkmcnt(1)
	v_lshrrev_b32_e32 v40, 16, v30
	v_fma_f16 v45, v0, v22, v45
	v_mul_f16_sdwa v22, v0, v22 dst_sel:DWORD dst_unused:UNUSED_PAD src0_sel:WORD_1 src1_sel:DWORD
	v_fma_f16 v0, v0, v38, -v22
	v_mul_f16_sdwa v22, v1, v40 dst_sel:DWORD dst_unused:UNUSED_PAD src0_sel:WORD_1 src1_sel:DWORD
	v_lshrrev_b32_e32 v41, 16, v31
	v_fma_f16 v22, v1, v30, v22
	v_mul_f16_sdwa v30, v1, v30 dst_sel:DWORD dst_unused:UNUSED_PAD src0_sel:WORD_1 src1_sel:DWORD
	ds_read_b32 v39, v23 offset:5880
	v_fma_f16 v1, v1, v40, -v30
	v_mul_f16_sdwa v30, v2, v41 dst_sel:DWORD dst_unused:UNUSED_PAD src0_sel:WORD_1 src1_sel:DWORD
	s_waitcnt lgkmcnt(1)
	v_lshrrev_b32_e32 v42, 16, v32
	v_fma_f16 v30, v2, v31, v30
	v_mul_f16_sdwa v31, v2, v31 dst_sel:DWORD dst_unused:UNUSED_PAD src0_sel:WORD_1 src1_sel:DWORD
	v_fma_f16 v2, v2, v41, -v31
	v_mul_f16_sdwa v31, v3, v42 dst_sel:DWORD dst_unused:UNUSED_PAD src0_sel:WORD_1 src1_sel:DWORD
	v_lshrrev_b32_e32 v43, 16, v33
	v_fma_f16 v31, v3, v32, v31
	v_mul_f16_sdwa v32, v3, v32 dst_sel:DWORD dst_unused:UNUSED_PAD src0_sel:WORD_1 src1_sel:DWORD
	v_fma_f16 v3, v3, v42, -v32
	v_mul_f16_sdwa v32, v15, v43 dst_sel:DWORD dst_unused:UNUSED_PAD src0_sel:WORD_1 src1_sel:DWORD
	s_waitcnt lgkmcnt(0)
	v_lshrrev_b32_e32 v44, 16, v39
	v_fma_f16 v32, v15, v33, v32
	v_mul_f16_sdwa v33, v15, v33 dst_sel:DWORD dst_unused:UNUSED_PAD src0_sel:WORD_1 src1_sel:DWORD
	v_fma_f16 v15, v15, v43, -v33
	v_mul_f16_sdwa v33, v16, v44 dst_sel:DWORD dst_unused:UNUSED_PAD src0_sel:WORD_1 src1_sel:DWORD
	v_mul_f16_sdwa v38, v16, v39 dst_sel:DWORD dst_unused:UNUSED_PAD src0_sel:WORD_1 src1_sel:DWORD
	v_fma_f16 v33, v16, v39, v33
	v_fma_f16 v16, v16, v44, -v38
	v_add_f16_e32 v38, v45, v33
	v_add_f16_e32 v39, v0, v16
	v_sub_f16_e32 v0, v0, v16
	v_add_f16_e32 v16, v22, v32
	v_add_f16_e32 v40, v1, v15
	v_sub_f16_e32 v33, v45, v33
	v_sub_f16_e32 v22, v22, v32
	;; [unrolled: 1-line block ×3, first 2 shown]
	v_add_f16_e32 v15, v30, v31
	v_add_f16_e32 v32, v2, v3
	v_sub_f16_e32 v30, v31, v30
	v_sub_f16_e32 v2, v3, v2
	v_add_f16_e32 v3, v16, v38
	v_add_f16_e32 v31, v40, v39
	v_sub_f16_e32 v41, v16, v38
	v_sub_f16_e32 v42, v40, v39
	;; [unrolled: 1-line block ×6, first 2 shown]
	v_add_f16_e32 v43, v30, v22
	v_add_f16_e32 v44, v2, v1
	v_sub_f16_e32 v45, v30, v22
	v_sub_f16_e32 v46, v2, v1
	;; [unrolled: 1-line block ×4, first 2 shown]
	v_add_f16_e32 v3, v15, v3
	v_add_f16_e32 v15, v32, v31
	v_sub_f16_e32 v30, v33, v30
	v_sub_f16_e32 v2, v0, v2
	v_add_f16_e32 v31, v43, v33
	v_add_f16_e32 v0, v44, v0
	;; [unrolled: 1-line block ×3, first 2 shown]
	v_add_f16_sdwa v21, v21, v15 dst_sel:DWORD dst_unused:UNUSED_PAD src0_sel:WORD_1 src1_sel:DWORD
	v_mul_f16_e32 v33, 0x3a52, v38
	v_mul_f16_e32 v38, 0x3a52, v39
	s_movk_i32 s3, 0x2b26
	v_mul_f16_e32 v39, 0x2b26, v16
	v_mul_f16_e32 v43, 0x2b26, v40
	;; [unrolled: 1-line block ×4, first 2 shown]
	s_mov_b32 s2, 0xbb00
	v_mul_f16_e32 v46, 0xbb00, v22
	v_mul_f16_e32 v47, 0xbb00, v1
	s_mov_b32 s4, 0xbcab
	s_movk_i32 s5, 0x39e0
	s_mov_b32 s13, 0xb9e0
	s_mov_b32 s14, 0xb574
	s_movk_i32 s15, 0x3574
	v_fma_f16 v3, v3, s4, v32
	v_fma_f16 v15, v15, s4, v21
	;; [unrolled: 1-line block ×4, first 2 shown]
	v_fma_f16 v39, v41, s5, -v39
	v_fma_f16 v43, v42, s5, -v43
	;; [unrolled: 1-line block ×4, first 2 shown]
	v_fma_f16 v41, v30, s14, v44
	v_fma_f16 v42, v2, s14, v45
	v_fma_f16 v22, v22, s2, -v44
	v_fma_f16 v1, v1, s2, -v45
	;; [unrolled: 1-line block ×4, first 2 shown]
	s_mov_b32 s12, 0xb70e
	v_add_f16_e32 v16, v16, v3
	v_add_f16_e32 v40, v40, v15
	;; [unrolled: 1-line block ×6, first 2 shown]
	v_fma_f16 v33, v31, s12, v41
	v_fma_f16 v38, v0, s12, v42
	;; [unrolled: 1-line block ×6, first 2 shown]
	v_add_f16_e32 v2, v38, v16
	v_sub_f16_e32 v31, v40, v33
	v_add_f16_e32 v41, v0, v3
	v_sub_f16_e32 v44, v39, v1
	v_add_f16_e32 v45, v22, v43
	v_add_f16_e32 v1, v1, v39
	v_sub_f16_e32 v22, v43, v22
	v_sub_f16_e32 v0, v3, v0
	v_add_f16_e32 v3, v30, v15
	v_sub_f16_e32 v42, v15, v30
	v_sub_f16_e32 v15, v16, v38
	v_add_f16_e32 v16, v33, v40
	v_pack_b32_f16 v21, v32, v21
	v_pack_b32_f16 v2, v2, v31
	v_pack_b32_f16 v1, v1, v22
	v_pack_b32_f16 v0, v0, v3
	s_barrier
	ds_write2_b32 v35, v21, v2 offset1:5
	v_pack_b32_f16 v2, v41, v42
	v_pack_b32_f16 v21, v44, v45
	ds_write2_b32 v35, v1, v0 offset0:20 offset1:25
	v_pack_b32_f16 v0, v15, v16
	ds_write2_b32 v35, v2, v21 offset0:10 offset1:15
	ds_write_b32 v35, v0 offset:120
	s_waitcnt lgkmcnt(0)
	s_barrier
	ds_read2_b32 v[0:1], v23 offset1:245
	ds_read2_b32 v[2:3], v34 offset0:10 offset1:255
	ds_read2_b32 v[15:16], v37 offset0:4 offset1:249
	ds_read_b32 v22, v23 offset:5880
	s_waitcnt lgkmcnt(0)
	v_lshrrev_b32_e32 v21, 16, v1
	v_mul_f16_sdwa v38, v4, v21 dst_sel:DWORD dst_unused:UNUSED_PAD src0_sel:WORD_1 src1_sel:DWORD
	v_lshrrev_b32_e32 v30, 16, v2
	v_fma_f16 v38, v4, v1, v38
	v_mul_f16_sdwa v1, v4, v1 dst_sel:DWORD dst_unused:UNUSED_PAD src0_sel:WORD_1 src1_sel:DWORD
	v_fma_f16 v1, v4, v21, -v1
	v_mul_f16_sdwa v4, v5, v30 dst_sel:DWORD dst_unused:UNUSED_PAD src0_sel:WORD_1 src1_sel:DWORD
	v_lshrrev_b32_e32 v31, 16, v3
	v_fma_f16 v4, v5, v2, v4
	v_mul_f16_sdwa v2, v5, v2 dst_sel:DWORD dst_unused:UNUSED_PAD src0_sel:WORD_1 src1_sel:DWORD
	v_fma_f16 v2, v5, v30, -v2
	;; [unrolled: 5-line block ×5, first 2 shown]
	v_mul_f16_sdwa v17, v18, v35 dst_sel:DWORD dst_unused:UNUSED_PAD src0_sel:WORD_1 src1_sel:DWORD
	v_mul_f16_sdwa v21, v18, v22 dst_sel:DWORD dst_unused:UNUSED_PAD src0_sel:WORD_1 src1_sel:DWORD
	v_fma_f16 v17, v18, v22, v17
	v_fma_f16 v18, v18, v35, -v21
	v_add_f16_e32 v21, v38, v17
	v_add_f16_e32 v22, v1, v18
	v_sub_f16_e32 v1, v1, v18
	v_add_f16_e32 v18, v4, v15
	v_add_f16_e32 v30, v2, v16
	v_sub_f16_e32 v4, v4, v15
	v_sub_f16_e32 v2, v2, v16
	v_add_f16_e32 v15, v5, v6
	v_add_f16_e32 v16, v3, v7
	v_sub_f16_e32 v5, v6, v5
	;; [unrolled: 4-line block ×3, first 2 shown]
	v_sub_f16_e32 v31, v18, v21
	v_sub_f16_e32 v32, v30, v22
	;; [unrolled: 1-line block ×6, first 2 shown]
	v_add_f16_e32 v33, v5, v4
	v_add_f16_e32 v35, v3, v2
	v_sub_f16_e32 v38, v5, v4
	v_sub_f16_e32 v39, v3, v2
	v_add_f16_e32 v6, v15, v6
	v_add_f16_e32 v7, v16, v7
	v_sub_f16_e32 v5, v17, v5
	v_sub_f16_e32 v3, v1, v3
	v_sub_f16_e32 v4, v4, v17
	v_sub_f16_e32 v2, v2, v1
	v_add_f16_e32 v15, v33, v17
	v_add_f16_e32 v1, v35, v1
	;; [unrolled: 1-line block ×3, first 2 shown]
	v_add_f16_sdwa v0, v0, v7 dst_sel:DWORD dst_unused:UNUSED_PAD src0_sel:WORD_1 src1_sel:DWORD
	v_mul_f16_e32 v17, 0x3a52, v21
	v_mul_f16_e32 v21, 0x3a52, v22
	;; [unrolled: 1-line block ×8, first 2 shown]
	v_fma_f16 v6, v6, s4, v16
	v_fma_f16 v7, v7, s4, v0
	;; [unrolled: 1-line block ×4, first 2 shown]
	v_fma_f16 v22, v31, s5, -v22
	v_fma_f16 v33, v32, s5, -v33
	;; [unrolled: 1-line block ×4, first 2 shown]
	v_fma_f16 v31, v5, s14, v35
	v_fma_f16 v32, v3, s14, v38
	v_fma_f16 v4, v4, s2, -v35
	v_fma_f16 v2, v2, s2, -v38
	;; [unrolled: 1-line block ×4, first 2 shown]
	v_add_f16_e32 v18, v18, v6
	v_add_f16_e32 v30, v30, v7
	;; [unrolled: 1-line block ×6, first 2 shown]
	v_fma_f16 v17, v15, s12, v31
	v_fma_f16 v21, v1, s12, v32
	;; [unrolled: 1-line block ×6, first 2 shown]
	v_add_f16_e32 v3, v21, v18
	v_sub_f16_e32 v15, v30, v17
	v_add_f16_e32 v31, v1, v6
	v_sub_f16_e32 v32, v7, v5
	v_sub_f16_e32 v35, v22, v2
	v_add_f16_e32 v38, v4, v33
	v_pack_b32_f16 v0, v16, v0
	v_pack_b32_f16 v3, v3, v15
	v_add_f16_e32 v2, v2, v22
	v_sub_f16_e32 v4, v33, v4
	v_sub_f16_e32 v1, v6, v1
	v_add_f16_e32 v5, v5, v7
	s_barrier
	ds_write2_b32 v36, v0, v3 offset1:35
	v_pack_b32_f16 v0, v31, v32
	v_pack_b32_f16 v3, v35, v38
	v_sub_f16_e32 v6, v18, v21
	v_add_f16_e32 v7, v17, v30
	ds_write2_b32 v36, v0, v3 offset0:70 offset1:105
	v_pack_b32_f16 v0, v2, v4
	v_pack_b32_f16 v1, v1, v5
	ds_write2_b32 v36, v0, v1 offset0:140 offset1:175
	v_pack_b32_f16 v0, v6, v7
	ds_write_b32 v36, v0 offset:840
	s_waitcnt lgkmcnt(0)
	s_barrier
	ds_read2_b32 v[0:1], v23 offset1:245
	ds_read2_b32 v[2:3], v34 offset0:10 offset1:255
	ds_read2_b32 v[4:5], v37 offset0:4 offset1:249
	ds_read_b32 v7, v23 offset:5880
	s_movk_i32 s16, 0x1000
	s_waitcnt lgkmcnt(3)
	v_lshrrev_b32_e32 v6, 16, v1
	v_mul_f16_sdwa v22, v8, v6 dst_sel:DWORD dst_unused:UNUSED_PAD src0_sel:WORD_1 src1_sel:DWORD
	s_waitcnt lgkmcnt(2)
	v_lshrrev_b32_e32 v15, 16, v2
	v_fma_f16 v22, v8, v1, v22
	v_mul_f16_sdwa v1, v8, v1 dst_sel:DWORD dst_unused:UNUSED_PAD src0_sel:WORD_1 src1_sel:DWORD
	v_fma_f16 v1, v8, v6, -v1
	v_mul_f16_sdwa v6, v9, v15 dst_sel:DWORD dst_unused:UNUSED_PAD src0_sel:WORD_1 src1_sel:DWORD
	v_lshrrev_b32_e32 v16, 16, v3
	s_waitcnt lgkmcnt(1)
	v_lshrrev_b32_e32 v17, 16, v4
	v_fma_f16 v6, v9, v2, v6
	v_mul_f16_sdwa v2, v9, v2 dst_sel:DWORD dst_unused:UNUSED_PAD src0_sel:WORD_1 src1_sel:DWORD
	v_fma_f16 v2, v9, v15, -v2
	v_mul_f16_sdwa v8, v10, v16 dst_sel:DWORD dst_unused:UNUSED_PAD src0_sel:WORD_1 src1_sel:DWORD
	v_mul_f16_sdwa v9, v11, v17 dst_sel:DWORD dst_unused:UNUSED_PAD src0_sel:WORD_1 src1_sel:DWORD
	v_lshrrev_b32_e32 v18, 16, v5
	s_waitcnt lgkmcnt(0)
	v_lshrrev_b32_e32 v21, 16, v7
	v_fma_f16 v8, v10, v3, v8
	v_mul_f16_sdwa v3, v10, v3 dst_sel:DWORD dst_unused:UNUSED_PAD src0_sel:WORD_1 src1_sel:DWORD
	v_fma_f16 v9, v11, v4, v9
	v_mul_f16_sdwa v4, v11, v4 dst_sel:DWORD dst_unused:UNUSED_PAD src0_sel:WORD_1 src1_sel:DWORD
	v_fma_f16 v3, v10, v16, -v3
	v_fma_f16 v4, v11, v17, -v4
	v_mul_f16_sdwa v10, v19, v18 dst_sel:DWORD dst_unused:UNUSED_PAD src0_sel:WORD_1 src1_sel:DWORD
	v_mul_f16_sdwa v11, v20, v21 dst_sel:DWORD dst_unused:UNUSED_PAD src0_sel:WORD_1 src1_sel:DWORD
	v_fma_f16 v10, v19, v5, v10
	v_mul_f16_sdwa v5, v19, v5 dst_sel:DWORD dst_unused:UNUSED_PAD src0_sel:WORD_1 src1_sel:DWORD
	v_fma_f16 v11, v20, v7, v11
	v_mul_f16_sdwa v7, v20, v7 dst_sel:DWORD dst_unused:UNUSED_PAD src0_sel:WORD_1 src1_sel:DWORD
	v_fma_f16 v5, v19, v18, -v5
	v_fma_f16 v7, v20, v21, -v7
	v_add_f16_e32 v15, v22, v11
	v_add_f16_e32 v16, v1, v7
	v_sub_f16_e32 v1, v1, v7
	v_add_f16_e32 v7, v6, v10
	v_add_f16_e32 v17, v2, v5
	v_sub_f16_e32 v6, v6, v10
	v_sub_f16_e32 v2, v2, v5
	v_add_f16_e32 v5, v8, v9
	v_add_f16_e32 v10, v3, v4
	v_sub_f16_e32 v8, v9, v8
	;; [unrolled: 4-line block ×3, first 2 shown]
	v_sub_f16_e32 v18, v7, v15
	v_sub_f16_e32 v19, v17, v16
	;; [unrolled: 1-line block ×6, first 2 shown]
	v_add_f16_e32 v20, v8, v6
	v_add_f16_e32 v21, v3, v2
	v_sub_f16_e32 v22, v8, v6
	v_sub_f16_e32 v30, v3, v2
	v_add_f16_e32 v4, v5, v4
	v_add_f16_e32 v5, v10, v9
	v_sub_f16_e32 v8, v11, v8
	v_sub_f16_e32 v3, v1, v3
	;; [unrolled: 1-line block ×4, first 2 shown]
	v_add_f16_e32 v9, v20, v11
	v_add_f16_e32 v1, v21, v1
	;; [unrolled: 1-line block ×3, first 2 shown]
	v_add_f16_sdwa v0, v0, v5 dst_sel:DWORD dst_unused:UNUSED_PAD src0_sel:WORD_1 src1_sel:DWORD
	v_mul_f16_e32 v11, 0x3a52, v15
	v_mul_f16_e32 v15, 0x3a52, v16
	;; [unrolled: 1-line block ×8, first 2 shown]
	v_fma_f16 v4, v4, s4, v10
	v_fma_f16 v5, v5, s4, v0
	;; [unrolled: 1-line block ×4, first 2 shown]
	v_fma_f16 v16, v18, s5, -v16
	v_fma_f16 v20, v19, s5, -v20
	v_fma_f16 v11, v18, s13, -v11
	v_fma_f16 v15, v19, s13, -v15
	v_fma_f16 v18, v8, s14, v21
	v_fma_f16 v19, v3, s14, v22
	v_fma_f16 v6, v6, s2, -v21
	v_fma_f16 v2, v2, s2, -v22
	;; [unrolled: 1-line block ×4, first 2 shown]
	v_add_f16_e32 v7, v7, v4
	v_add_f16_e32 v17, v17, v5
	;; [unrolled: 1-line block ×6, first 2 shown]
	v_fma_f16 v11, v9, s12, v18
	v_fma_f16 v15, v1, s12, v19
	;; [unrolled: 1-line block ×6, first 2 shown]
	v_add_f16_e32 v3, v15, v7
	v_sub_f16_e32 v9, v17, v11
	v_add_f16_e32 v18, v1, v4
	v_sub_f16_e32 v19, v5, v8
	v_sub_f16_e32 v21, v16, v2
	v_add_f16_e32 v22, v6, v20
	v_pack_b32_f16 v0, v10, v0
	v_pack_b32_f16 v3, v3, v9
	v_add_f16_e32 v2, v2, v16
	v_sub_f16_e32 v6, v20, v6
	v_sub_f16_e32 v1, v4, v1
	v_add_f16_e32 v4, v8, v5
	ds_write2_b32 v23, v0, v3 offset1:245
	v_pack_b32_f16 v0, v18, v19
	v_pack_b32_f16 v3, v21, v22
	v_sub_f16_e32 v5, v7, v15
	v_add_f16_e32 v7, v11, v17
	ds_write2_b32 v34, v0, v3 offset0:10 offset1:255
	v_pack_b32_f16 v0, v2, v6
	v_pack_b32_f16 v1, v1, v4
	ds_write2_b32 v37, v0, v1 offset0:4 offset1:249
	v_pack_b32_f16 v0, v5, v7
	ds_write_b32 v23, v0 offset:5880
	s_waitcnt lgkmcnt(0)
	s_barrier
	ds_read_b32 v6, v23
	ds_read_b32 v7, v23 offset:1372
	ds_read_b32 v8, v23 offset:2744
	;; [unrolled: 1-line block ×4, first 2 shown]
	s_waitcnt lgkmcnt(4)
	v_lshrrev_b32_e32 v11, 16, v6
	v_mul_f16_sdwa v0, v29, v11 dst_sel:DWORD dst_unused:UNUSED_PAD src0_sel:WORD_1 src1_sel:DWORD
	v_fma_f16 v0, v29, v6, v0
	v_cvt_f32_f16_e32 v2, v0
	s_mov_b32 s12, 0xde1d8e4
	s_mov_b32 s13, 0x3f431b51
	v_mad_u64_u32 v[0:1], s[2:3], s10, v14, 0
	v_cvt_f64_f32_e32 v[2:3], v2
	s_movk_i32 s10, 0x1ff
	s_movk_i32 s14, 0x40f
	s_mov_b32 s15, 0x8000
	v_mul_f64 v[2:3], v[2:3], s[12:13]
	v_mad_u64_u32 v[4:5], s[2:3], s11, v14, v[1:2]
	v_and_or_b32 v2, v3, s10, v2
	v_cmp_ne_u32_e32 vcc, 0, v2
	v_mov_b32_e32 v1, v4
	v_cndmask_b32_e64 v2, 0, 1, vcc
	v_lshrrev_b32_e32 v4, 8, v3
	s_movk_i32 s11, 0xffe
	v_and_or_b32 v14, v4, s11, v2
	v_bfe_u32 v4, v3, 20, 11
	v_sub_u32_e32 v5, 0x3f1, v4
	v_or_b32_e32 v2, 0x1000, v14
	v_med3_i32 v5, v5, 0, 13
	v_lshrrev_b32_e32 v15, v5, v2
	v_lshlrev_b32_e32 v5, v5, v15
	v_cmp_ne_u32_e32 vcc, v5, v2
	v_cndmask_b32_e64 v2, 0, 1, vcc
	v_or_b32_e32 v2, v15, v2
	v_add_u32_e32 v15, 0xfffffc10, v4
	v_lshl_or_b32 v4, v15, 12, v14
	v_cmp_gt_i32_e32 vcc, 1, v15
	v_cndmask_b32_e32 v2, v4, v2, vcc
	v_and_b32_e32 v4, 7, v2
	v_cmp_lt_i32_e32 vcc, 5, v4
	v_cmp_eq_u32_e64 s[2:3], 3, v4
	v_mul_f16_sdwa v4, v29, v6 dst_sel:DWORD dst_unused:UNUSED_PAD src0_sel:WORD_1 src1_sel:DWORD
	v_fma_f16 v4, v29, v11, -v4
	v_cvt_f32_f16_e32 v4, v4
	v_lshrrev_b32_e32 v2, 2, v2
	s_or_b64 vcc, s[2:3], vcc
	v_addc_co_u32_e32 v6, vcc, 0, v2, vcc
	v_cvt_f64_f32_e32 v[4:5], v4
	v_mov_b32_e32 v2, 0x7c00
	v_cmp_gt_i32_e32 vcc, 31, v15
	v_cndmask_b32_e32 v6, v2, v6, vcc
	v_mul_f64 v[4:5], v[4:5], s[12:13]
	v_cmp_ne_u32_e32 vcc, 0, v14
	v_cndmask_b32_e64 v11, 0, 1, vcc
	v_lshl_or_b32 v11, v11, 9, v2
	v_cmp_eq_u32_e32 vcc, s14, v15
	v_cndmask_b32_e32 v6, v6, v11, vcc
	v_lshrrev_b32_e32 v3, 16, v3
	v_and_or_b32 v6, v3, s15, v6
	v_and_or_b32 v3, v5, s10, v4
	v_cmp_ne_u32_e32 vcc, 0, v3
	v_cndmask_b32_e64 v3, 0, 1, vcc
	v_lshrrev_b32_e32 v4, 8, v5
	v_bfe_u32 v11, v5, 20, 11
	v_and_or_b32 v3, v4, s11, v3
	v_sub_u32_e32 v14, 0x3f1, v11
	v_or_b32_e32 v4, 0x1000, v3
	v_med3_i32 v14, v14, 0, 13
	v_lshrrev_b32_e32 v15, v14, v4
	v_lshlrev_b32_e32 v14, v14, v15
	v_cmp_ne_u32_e32 vcc, v14, v4
	v_cndmask_b32_e64 v4, 0, 1, vcc
	v_add_u32_e32 v11, 0xfffffc10, v11
	v_or_b32_e32 v4, v15, v4
	v_lshl_or_b32 v14, v11, 12, v3
	v_cmp_gt_i32_e32 vcc, 1, v11
	v_cndmask_b32_e32 v4, v14, v4, vcc
	v_and_b32_e32 v14, 7, v4
	v_cmp_lt_i32_e32 vcc, 5, v14
	v_cmp_eq_u32_e64 s[2:3], 3, v14
	v_lshrrev_b32_e32 v4, 2, v4
	s_or_b64 vcc, s[2:3], vcc
	v_addc_co_u32_e32 v4, vcc, 0, v4, vcc
	v_cmp_gt_i32_e32 vcc, 31, v11
	v_cndmask_b32_e32 v14, v2, v4, vcc
	v_cmp_ne_u32_e32 vcc, 0, v3
	v_cndmask_b32_e64 v3, 0, 1, vcc
	v_lshl_or_b32 v15, v3, 9, v2
	v_mad_u64_u32 v[3:4], s[2:3], s8, v27, 0
	v_cmp_eq_u32_e32 vcc, s14, v11
	v_cndmask_b32_e32 v11, v14, v15, vcc
	v_lshrrev_b32_e32 v14, 16, v5
	v_mad_u64_u32 v[4:5], s[2:3], s9, v27, v[4:5]
	s_waitcnt lgkmcnt(3)
	v_lshrrev_b32_e32 v15, 16, v7
	v_mul_f16_sdwa v5, v28, v15 dst_sel:DWORD dst_unused:UNUSED_PAD src0_sel:WORD_1 src1_sel:DWORD
	v_fma_f16 v5, v28, v7, v5
	v_cvt_f32_f16_e32 v5, v5
	v_and_or_b32 v11, v14, s15, v11
	v_and_b32_e32 v14, 0xffff, v6
	v_lshlrev_b64 v[0:1], 2, v[0:1]
	v_cvt_f64_f32_e32 v[5:6], v5
	v_lshl_or_b32 v11, v11, 16, v14
	v_mov_b32_e32 v14, s7
	v_add_co_u32_e32 v16, vcc, s6, v0
	v_mul_f64 v[5:6], v[5:6], s[12:13]
	v_addc_co_u32_e32 v14, vcc, v14, v1, vcc
	v_lshlrev_b64 v[0:1], 2, v[3:4]
	v_mul_f16_sdwa v7, v28, v7 dst_sel:DWORD dst_unused:UNUSED_PAD src0_sel:WORD_1 src1_sel:DWORD
	v_add_co_u32_e32 v0, vcc, v16, v0
	v_addc_co_u32_e32 v1, vcc, v14, v1, vcc
	v_and_or_b32 v3, v6, s10, v5
	v_cmp_ne_u32_e32 vcc, 0, v3
	v_cndmask_b32_e64 v3, 0, 1, vcc
	v_lshrrev_b32_e32 v4, 8, v6
	v_and_or_b32 v5, v4, s11, v3
	v_bfe_u32 v4, v6, 20, 11
	global_store_dword v[0:1], v11, off
	v_sub_u32_e32 v11, 0x3f1, v4
	v_or_b32_e32 v3, 0x1000, v5
	v_med3_i32 v11, v11, 0, 13
	v_lshrrev_b32_e32 v14, v11, v3
	v_lshlrev_b32_e32 v11, v11, v14
	v_cmp_ne_u32_e32 vcc, v11, v3
	v_fma_f16 v7, v28, v15, -v7
	v_cndmask_b32_e64 v3, 0, 1, vcc
	v_add_u32_e32 v11, 0xfffffc10, v4
	v_cvt_f32_f16_e32 v7, v7
	v_or_b32_e32 v3, v14, v3
	v_lshl_or_b32 v4, v11, 12, v5
	v_cmp_gt_i32_e32 vcc, 1, v11
	v_cndmask_b32_e32 v3, v4, v3, vcc
	v_and_b32_e32 v4, 7, v3
	v_cmp_lt_i32_e32 vcc, 5, v4
	v_cmp_eq_u32_e64 s[2:3], 3, v4
	v_lshrrev_b32_e32 v14, 2, v3
	v_cvt_f64_f32_e32 v[3:4], v7
	s_or_b64 vcc, s[2:3], vcc
	v_addc_co_u32_e32 v7, vcc, 0, v14, vcc
	v_mul_f64 v[3:4], v[3:4], s[12:13]
	v_cmp_gt_i32_e32 vcc, 31, v11
	v_cndmask_b32_e32 v7, v2, v7, vcc
	v_cmp_ne_u32_e32 vcc, 0, v5
	v_cndmask_b32_e64 v5, 0, 1, vcc
	v_lshl_or_b32 v5, v5, 9, v2
	v_cmp_eq_u32_e32 vcc, s14, v11
	v_cndmask_b32_e32 v5, v7, v5, vcc
	v_and_or_b32 v3, v4, s10, v3
	v_lshrrev_b32_e32 v6, 16, v6
	v_cmp_ne_u32_e32 vcc, 0, v3
	v_and_or_b32 v5, v6, s15, v5
	v_cndmask_b32_e64 v3, 0, 1, vcc
	v_lshrrev_b32_e32 v6, 8, v4
	v_bfe_u32 v7, v4, 20, 11
	v_and_or_b32 v3, v6, s11, v3
	v_sub_u32_e32 v11, 0x3f1, v7
	v_or_b32_e32 v6, 0x1000, v3
	v_med3_i32 v11, v11, 0, 13
	v_lshrrev_b32_e32 v14, v11, v6
	v_lshlrev_b32_e32 v11, v11, v14
	v_cmp_ne_u32_e32 vcc, v11, v6
	v_cndmask_b32_e64 v6, 0, 1, vcc
	v_add_u32_e32 v7, 0xfffffc10, v7
	v_or_b32_e32 v6, v14, v6
	v_lshl_or_b32 v11, v7, 12, v3
	v_cmp_gt_i32_e32 vcc, 1, v7
	v_cndmask_b32_e32 v6, v11, v6, vcc
	v_and_b32_e32 v11, 7, v6
	v_cmp_lt_i32_e32 vcc, 5, v11
	v_cmp_eq_u32_e64 s[2:3], 3, v11
	v_lshrrev_b32_e32 v6, 2, v6
	s_or_b64 vcc, s[2:3], vcc
	v_addc_co_u32_e32 v6, vcc, 0, v6, vcc
	v_cmp_gt_i32_e32 vcc, 31, v7
	v_cndmask_b32_e32 v6, v2, v6, vcc
	v_cmp_ne_u32_e32 vcc, 0, v3
	v_cndmask_b32_e64 v3, 0, 1, vcc
	v_lshl_or_b32 v3, v3, 9, v2
	v_cmp_eq_u32_e32 vcc, s14, v7
	v_cndmask_b32_e32 v3, v6, v3, vcc
	v_lshrrev_b32_e32 v4, 16, v4
	s_waitcnt lgkmcnt(2)
	v_lshrrev_b32_e32 v7, 16, v8
	v_and_or_b32 v6, v4, s15, v3
	v_mul_f16_sdwa v3, v26, v7 dst_sel:DWORD dst_unused:UNUSED_PAD src0_sel:WORD_1 src1_sel:DWORD
	v_fma_f16 v3, v26, v8, v3
	v_cvt_f32_f16_e32 v3, v3
	s_mul_i32 s2, s9, 0x157
	s_mul_hi_u32 s3, s8, 0x157
	s_add_i32 s3, s3, s2
	v_cvt_f64_f32_e32 v[3:4], v3
	s_mul_i32 s2, s8, 0x157
	s_lshl_b64 s[6:7], s[2:3], 2
	v_mov_b32_e32 v11, s7
	v_mul_f64 v[3:4], v[3:4], s[12:13]
	v_add_co_u32_e32 v0, vcc, s6, v0
	v_and_b32_e32 v5, 0xffff, v5
	v_addc_co_u32_e32 v1, vcc, v1, v11, vcc
	v_lshl_or_b32 v5, v6, 16, v5
	global_store_dword v[0:1], v5, off
	v_and_or_b32 v3, v4, s10, v3
	v_cmp_ne_u32_e32 vcc, 0, v3
	v_cndmask_b32_e64 v3, 0, 1, vcc
	v_lshrrev_b32_e32 v5, 8, v4
	v_bfe_u32 v6, v4, 20, 11
	v_and_or_b32 v3, v5, s11, v3
	v_sub_u32_e32 v14, 0x3f1, v6
	v_or_b32_e32 v5, 0x1000, v3
	v_med3_i32 v14, v14, 0, 13
	v_lshrrev_b32_e32 v15, v14, v5
	v_lshlrev_b32_e32 v14, v14, v15
	v_mul_f16_sdwa v8, v26, v8 dst_sel:DWORD dst_unused:UNUSED_PAD src0_sel:WORD_1 src1_sel:DWORD
	v_cmp_ne_u32_e32 vcc, v14, v5
	v_fma_f16 v7, v26, v7, -v8
	v_cndmask_b32_e64 v5, 0, 1, vcc
	v_add_u32_e32 v14, 0xfffffc10, v6
	v_cvt_f32_f16_e32 v7, v7
	v_or_b32_e32 v5, v15, v5
	v_lshl_or_b32 v6, v14, 12, v3
	v_cmp_gt_i32_e32 vcc, 1, v14
	v_cndmask_b32_e32 v5, v6, v5, vcc
	v_and_b32_e32 v6, 7, v5
	v_cmp_lt_i32_e32 vcc, 5, v6
	v_cmp_eq_u32_e64 s[2:3], 3, v6
	v_lshrrev_b32_e32 v8, 2, v5
	v_cvt_f64_f32_e32 v[5:6], v7
	s_or_b64 vcc, s[2:3], vcc
	v_addc_co_u32_e32 v7, vcc, 0, v8, vcc
	v_mul_f64 v[5:6], v[5:6], s[12:13]
	v_cmp_gt_i32_e32 vcc, 31, v14
	v_cndmask_b32_e32 v7, v2, v7, vcc
	v_cmp_ne_u32_e32 vcc, 0, v3
	v_cndmask_b32_e64 v3, 0, 1, vcc
	v_lshl_or_b32 v3, v3, 9, v2
	v_cmp_eq_u32_e32 vcc, s14, v14
	v_cndmask_b32_e32 v3, v7, v3, vcc
	v_lshrrev_b32_e32 v4, 16, v4
	v_and_or_b32 v7, v4, s15, v3
	v_and_or_b32 v3, v6, s10, v5
	v_cmp_ne_u32_e32 vcc, 0, v3
	v_cndmask_b32_e64 v3, 0, 1, vcc
	v_lshrrev_b32_e32 v4, 8, v6
	v_bfe_u32 v5, v6, 20, 11
	v_and_or_b32 v3, v4, s11, v3
	v_sub_u32_e32 v8, 0x3f1, v5
	v_or_b32_e32 v4, 0x1000, v3
	v_med3_i32 v8, v8, 0, 13
	v_lshrrev_b32_e32 v14, v8, v4
	v_lshlrev_b32_e32 v8, v8, v14
	v_cmp_ne_u32_e32 vcc, v8, v4
	v_cndmask_b32_e64 v4, 0, 1, vcc
	v_add_u32_e32 v5, 0xfffffc10, v5
	v_or_b32_e32 v4, v14, v4
	v_lshl_or_b32 v8, v5, 12, v3
	v_cmp_gt_i32_e32 vcc, 1, v5
	v_cndmask_b32_e32 v4, v8, v4, vcc
	v_and_b32_e32 v8, 7, v4
	v_cmp_lt_i32_e32 vcc, 5, v8
	v_cmp_eq_u32_e64 s[2:3], 3, v8
	v_lshrrev_b32_e32 v4, 2, v4
	s_or_b64 vcc, s[2:3], vcc
	v_addc_co_u32_e32 v4, vcc, 0, v4, vcc
	v_cmp_gt_i32_e32 vcc, 31, v5
	s_waitcnt lgkmcnt(1)
	v_lshrrev_b32_e32 v14, 16, v9
	v_cndmask_b32_e32 v8, v2, v4, vcc
	v_mul_f16_sdwa v4, v25, v14 dst_sel:DWORD dst_unused:UNUSED_PAD src0_sel:WORD_1 src1_sel:DWORD
	v_fma_f16 v4, v25, v9, v4
	v_cvt_f32_f16_e32 v4, v4
	v_cmp_ne_u32_e32 vcc, 0, v3
	v_cndmask_b32_e64 v3, 0, 1, vcc
	v_lshl_or_b32 v15, v3, 9, v2
	v_cvt_f64_f32_e32 v[3:4], v4
	v_cmp_eq_u32_e32 vcc, s14, v5
	v_cndmask_b32_e32 v5, v8, v15, vcc
	v_lshrrev_b32_e32 v6, 16, v6
	v_mul_f64 v[3:4], v[3:4], s[12:13]
	v_add_co_u32_e32 v0, vcc, s6, v0
	v_and_or_b32 v5, v6, s15, v5
	v_and_b32_e32 v6, 0xffff, v7
	v_addc_co_u32_e32 v1, vcc, v1, v11, vcc
	v_lshl_or_b32 v5, v5, 16, v6
	v_and_or_b32 v3, v4, s10, v3
	v_cmp_ne_u32_e32 vcc, 0, v3
	global_store_dword v[0:1], v5, off
	v_cndmask_b32_e64 v3, 0, 1, vcc
	v_lshrrev_b32_e32 v5, 8, v4
	v_bfe_u32 v6, v4, 20, 11
	v_and_or_b32 v3, v5, s11, v3
	v_sub_u32_e32 v7, 0x3f1, v6
	v_or_b32_e32 v5, 0x1000, v3
	v_med3_i32 v7, v7, 0, 13
	v_lshrrev_b32_e32 v8, v7, v5
	v_lshlrev_b32_e32 v7, v7, v8
	v_cmp_ne_u32_e32 vcc, v7, v5
	v_cndmask_b32_e64 v5, 0, 1, vcc
	v_or_b32_e32 v5, v8, v5
	v_mul_f16_sdwa v8, v25, v9 dst_sel:DWORD dst_unused:UNUSED_PAD src0_sel:WORD_1 src1_sel:DWORD
	v_fma_f16 v8, v25, v14, -v8
	v_add_u32_e32 v7, 0xfffffc10, v6
	v_cvt_f32_f16_e32 v8, v8
	v_lshl_or_b32 v6, v7, 12, v3
	v_cmp_gt_i32_e32 vcc, 1, v7
	v_cndmask_b32_e32 v5, v6, v5, vcc
	v_and_b32_e32 v6, 7, v5
	v_cmp_lt_i32_e32 vcc, 5, v6
	v_cmp_eq_u32_e64 s[2:3], 3, v6
	v_lshrrev_b32_e32 v9, 2, v5
	v_cvt_f64_f32_e32 v[5:6], v8
	s_or_b64 vcc, s[2:3], vcc
	v_addc_co_u32_e32 v8, vcc, 0, v9, vcc
	v_mul_f64 v[5:6], v[5:6], s[12:13]
	v_cmp_gt_i32_e32 vcc, 31, v7
	v_cndmask_b32_e32 v8, v2, v8, vcc
	v_cmp_ne_u32_e32 vcc, 0, v3
	v_cndmask_b32_e64 v3, 0, 1, vcc
	v_lshl_or_b32 v3, v3, 9, v2
	v_cmp_eq_u32_e32 vcc, s14, v7
	v_cndmask_b32_e32 v3, v8, v3, vcc
	v_lshrrev_b32_e32 v4, 16, v4
	v_and_or_b32 v7, v4, s15, v3
	v_and_or_b32 v3, v6, s10, v5
	v_cmp_ne_u32_e32 vcc, 0, v3
	v_cndmask_b32_e64 v3, 0, 1, vcc
	v_lshrrev_b32_e32 v4, 8, v6
	v_bfe_u32 v5, v6, 20, 11
	v_and_or_b32 v3, v4, s11, v3
	v_sub_u32_e32 v8, 0x3f1, v5
	v_or_b32_e32 v4, 0x1000, v3
	v_med3_i32 v8, v8, 0, 13
	v_lshrrev_b32_e32 v9, v8, v4
	v_lshlrev_b32_e32 v8, v8, v9
	v_cmp_ne_u32_e32 vcc, v8, v4
	v_cndmask_b32_e64 v4, 0, 1, vcc
	v_add_u32_e32 v5, 0xfffffc10, v5
	v_or_b32_e32 v4, v9, v4
	v_lshl_or_b32 v8, v5, 12, v3
	v_cmp_gt_i32_e32 vcc, 1, v5
	v_cndmask_b32_e32 v4, v8, v4, vcc
	v_and_b32_e32 v8, 7, v4
	v_cmp_lt_i32_e32 vcc, 5, v8
	v_cmp_eq_u32_e64 s[2:3], 3, v8
	v_lshrrev_b32_e32 v4, 2, v4
	s_or_b64 vcc, s[2:3], vcc
	v_addc_co_u32_e32 v4, vcc, 0, v4, vcc
	v_cmp_gt_i32_e32 vcc, 31, v5
	s_waitcnt lgkmcnt(0)
	v_lshrrev_b32_e32 v9, 16, v10
	v_cndmask_b32_e32 v8, v2, v4, vcc
	v_mul_f16_sdwa v4, v24, v9 dst_sel:DWORD dst_unused:UNUSED_PAD src0_sel:WORD_1 src1_sel:DWORD
	v_fma_f16 v4, v24, v10, v4
	v_cvt_f32_f16_e32 v4, v4
	v_cmp_ne_u32_e32 vcc, 0, v3
	v_cndmask_b32_e64 v3, 0, 1, vcc
	v_lshl_or_b32 v14, v3, 9, v2
	v_cvt_f64_f32_e32 v[3:4], v4
	v_cmp_eq_u32_e32 vcc, s14, v5
	v_cndmask_b32_e32 v5, v8, v14, vcc
	v_lshrrev_b32_e32 v6, 16, v6
	v_mul_f64 v[3:4], v[3:4], s[12:13]
	v_add_co_u32_e32 v0, vcc, s6, v0
	v_and_or_b32 v5, v6, s15, v5
	v_and_b32_e32 v6, 0xffff, v7
	v_addc_co_u32_e32 v1, vcc, v1, v11, vcc
	v_lshl_or_b32 v5, v5, 16, v6
	v_and_or_b32 v3, v4, s10, v3
	v_cmp_ne_u32_e32 vcc, 0, v3
	global_store_dword v[0:1], v5, off
	v_cndmask_b32_e64 v3, 0, 1, vcc
	v_lshrrev_b32_e32 v5, 8, v4
	v_bfe_u32 v6, v4, 20, 11
	v_and_or_b32 v3, v5, s11, v3
	v_sub_u32_e32 v7, 0x3f1, v6
	v_or_b32_e32 v5, 0x1000, v3
	v_med3_i32 v7, v7, 0, 13
	v_lshrrev_b32_e32 v8, v7, v5
	v_lshlrev_b32_e32 v7, v7, v8
	v_cmp_ne_u32_e32 vcc, v7, v5
	v_cndmask_b32_e64 v5, 0, 1, vcc
	v_or_b32_e32 v5, v8, v5
	v_mul_f16_sdwa v8, v24, v10 dst_sel:DWORD dst_unused:UNUSED_PAD src0_sel:WORD_1 src1_sel:DWORD
	v_fma_f16 v8, v24, v9, -v8
	v_add_u32_e32 v7, 0xfffffc10, v6
	v_cvt_f32_f16_e32 v8, v8
	v_lshl_or_b32 v6, v7, 12, v3
	v_cmp_gt_i32_e32 vcc, 1, v7
	v_cndmask_b32_e32 v5, v6, v5, vcc
	v_and_b32_e32 v6, 7, v5
	v_cmp_lt_i32_e32 vcc, 5, v6
	v_cmp_eq_u32_e64 s[2:3], 3, v6
	v_lshrrev_b32_e32 v9, 2, v5
	v_cvt_f64_f32_e32 v[5:6], v8
	s_or_b64 vcc, s[2:3], vcc
	v_addc_co_u32_e32 v8, vcc, 0, v9, vcc
	v_mul_f64 v[5:6], v[5:6], s[12:13]
	v_cmp_gt_i32_e32 vcc, 31, v7
	v_cndmask_b32_e32 v8, v2, v8, vcc
	v_cmp_ne_u32_e32 vcc, 0, v3
	v_cndmask_b32_e64 v3, 0, 1, vcc
	v_lshl_or_b32 v3, v3, 9, v2
	v_cmp_eq_u32_e32 vcc, s14, v7
	v_cndmask_b32_e32 v3, v8, v3, vcc
	v_lshrrev_b32_e32 v4, 16, v4
	v_and_or_b32 v3, v4, s15, v3
	v_and_or_b32 v4, v6, s10, v5
	v_cmp_ne_u32_e32 vcc, 0, v4
	v_cndmask_b32_e64 v4, 0, 1, vcc
	v_lshrrev_b32_e32 v5, 8, v6
	v_bfe_u32 v7, v6, 20, 11
	v_and_or_b32 v4, v5, s11, v4
	v_sub_u32_e32 v8, 0x3f1, v7
	v_or_b32_e32 v5, 0x1000, v4
	v_med3_i32 v8, v8, 0, 13
	v_lshrrev_b32_e32 v9, v8, v5
	v_lshlrev_b32_e32 v8, v8, v9
	v_cmp_ne_u32_e32 vcc, v8, v5
	v_cndmask_b32_e64 v5, 0, 1, vcc
	v_add_u32_e32 v7, 0xfffffc10, v7
	v_or_b32_e32 v5, v9, v5
	v_lshl_or_b32 v8, v7, 12, v4
	v_cmp_gt_i32_e32 vcc, 1, v7
	v_cndmask_b32_e32 v5, v8, v5, vcc
	v_and_b32_e32 v8, 7, v5
	v_cmp_lt_i32_e32 vcc, 5, v8
	v_cmp_eq_u32_e64 s[2:3], 3, v8
	v_lshrrev_b32_e32 v5, 2, v5
	s_or_b64 vcc, s[2:3], vcc
	v_addc_co_u32_e32 v5, vcc, 0, v5, vcc
	v_cmp_gt_i32_e32 vcc, 31, v7
	v_cndmask_b32_e32 v5, v2, v5, vcc
	v_cmp_ne_u32_e32 vcc, 0, v4
	v_cndmask_b32_e64 v4, 0, 1, vcc
	v_lshl_or_b32 v4, v4, 9, v2
	v_cmp_eq_u32_e32 vcc, s14, v7
	v_cndmask_b32_e32 v4, v5, v4, vcc
	v_lshrrev_b32_e32 v5, 16, v6
	v_and_or_b32 v4, v5, s15, v4
	v_and_b32_e32 v3, 0xffff, v3
	v_add_co_u32_e32 v0, vcc, s6, v0
	v_lshl_or_b32 v3, v4, 16, v3
	v_addc_co_u32_e32 v1, vcc, v1, v11, vcc
	global_store_dword v[0:1], v3, off
	s_and_b64 exec, exec, s[0:1]
	s_cbranch_execz .LBB0_15
; %bb.14:
	global_load_dword v3, v[12:13], off offset:980
	global_load_dword v9, v[12:13], off offset:2352
	;; [unrolled: 1-line block ×3, first 2 shown]
	ds_read_b32 v4, v23 offset:980
	ds_read_b32 v11, v23 offset:2352
	;; [unrolled: 1-line block ×5, first 2 shown]
	s_waitcnt lgkmcnt(4)
	v_lshrrev_b32_e32 v5, 16, v4
	s_waitcnt lgkmcnt(3)
	v_lshrrev_b32_e32 v17, 16, v11
	v_mov_b32_e32 v7, 0xffffee64
	v_mad_u64_u32 v[0:1], s[2:3], s8, v7, v[0:1]
	s_mul_i32 s0, s9, 0xffffee64
	s_sub_i32 s0, s0, s8
	v_add_u32_e32 v1, s0, v1
	s_waitcnt vmcnt(2)
	v_mul_f16_sdwa v6, v5, v3 dst_sel:DWORD dst_unused:UNUSED_PAD src0_sel:DWORD src1_sel:WORD_1
	v_mul_f16_sdwa v8, v4, v3 dst_sel:DWORD dst_unused:UNUSED_PAD src0_sel:DWORD src1_sel:WORD_1
	v_fma_f16 v4, v4, v3, v6
	v_cvt_f32_f16_e32 v4, v4
	s_waitcnt vmcnt(1)
	v_mul_f16_sdwa v6, v17, v9 dst_sel:DWORD dst_unused:UNUSED_PAD src0_sel:DWORD src1_sel:WORD_1
	v_fma_f16 v3, v3, v5, -v8
	v_cvt_f32_f16_e32 v5, v3
	v_fma_f16 v6, v11, v9, v6
	v_cvt_f32_f16_e32 v8, v6
	v_cvt_f64_f32_e32 v[3:4], v4
	v_cvt_f64_f32_e32 v[5:6], v5
	;; [unrolled: 1-line block ×3, first 2 shown]
	v_mul_f64 v[3:4], v[3:4], s[12:13]
	v_mul_f64 v[5:6], v[5:6], s[12:13]
	;; [unrolled: 1-line block ×3, first 2 shown]
	v_and_or_b32 v3, v4, s10, v3
	v_and_or_b32 v5, v6, s10, v5
	v_cmp_ne_u32_e32 vcc, 0, v3
	v_lshrrev_b32_e32 v18, 8, v4
	v_bfe_u32 v19, v4, 20, 11
	v_and_or_b32 v7, v8, s10, v7
	v_cndmask_b32_e64 v3, 0, 1, vcc
	v_cmp_ne_u32_e32 vcc, 0, v5
	v_lshrrev_b32_e32 v20, 8, v6
	v_bfe_u32 v21, v6, 20, 11
	v_bfe_u32 v23, v8, 20, 11
	v_sub_u32_e32 v24, 0x3f1, v19
	v_cndmask_b32_e64 v5, 0, 1, vcc
	v_cmp_ne_u32_e32 vcc, 0, v7
	v_and_or_b32 v3, v18, s11, v3
	v_lshrrev_b32_e32 v22, 8, v8
	v_sub_u32_e32 v25, 0x3f1, v21
	v_cndmask_b32_e64 v7, 0, 1, vcc
	v_sub_u32_e32 v26, 0x3f1, v23
	v_med3_i32 v18, v24, 0, 13
	v_and_or_b32 v5, v20, s11, v5
	v_or_b32_e32 v24, 0x1000, v3
	v_add_u32_e32 v19, 0xfffffc10, v19
	v_med3_i32 v20, v25, 0, 13
	v_and_or_b32 v7, v22, s11, v7
	v_med3_i32 v22, v26, 0, 13
	v_cmp_ne_u32_e32 vcc, 0, v3
	v_or_b32_e32 v26, 0x1000, v5
	v_lshrrev_b32_e32 v29, v18, v24
	v_add_u32_e32 v21, 0xfffffc10, v21
	v_lshl_or_b32 v25, v19, 12, v3
	v_cndmask_b32_e64 v3, 0, 1, vcc
	v_cmp_ne_u32_e32 vcc, 0, v5
	v_or_b32_e32 v28, 0x1000, v7
	v_lshrrev_b32_e32 v30, v20, v26
	v_lshlrev_b32_e32 v18, v18, v29
	v_lshl_or_b32 v27, v21, 12, v5
	v_cndmask_b32_e64 v5, 0, 1, vcc
	v_lshrrev_b32_e32 v31, v22, v28
	v_lshlrev_b32_e32 v20, v20, v30
	v_cmp_ne_u32_e32 vcc, v18, v24
	v_lshlrev_b32_e32 v22, v22, v31
	v_cndmask_b32_e64 v18, 0, 1, vcc
	v_cmp_ne_u32_e32 vcc, v20, v26
	v_cndmask_b32_e64 v20, 0, 1, vcc
	v_cmp_ne_u32_e32 vcc, v22, v28
	v_cndmask_b32_e64 v22, 0, 1, vcc
	v_or_b32_e32 v18, v29, v18
	v_cmp_gt_i32_e32 vcc, 1, v19
	v_cndmask_b32_e32 v18, v25, v18, vcc
	v_or_b32_e32 v20, v30, v20
	v_cmp_gt_i32_e32 vcc, 1, v21
	v_and_b32_e32 v24, 7, v18
	v_cndmask_b32_e32 v20, v27, v20, vcc
	v_cmp_lt_i32_e32 vcc, 5, v24
	v_cmp_eq_u32_e64 s[0:1], 3, v24
	v_lshrrev_b32_e32 v18, 2, v18
	v_and_b32_e32 v25, 7, v20
	s_or_b64 vcc, s[0:1], vcc
	v_cmp_lt_i32_e64 s[2:3], 5, v25
	v_cmp_eq_u32_e64 s[4:5], 3, v25
	v_addc_co_u32_e32 v18, vcc, 0, v18, vcc
	v_lshrrev_b32_e32 v20, 2, v20
	s_or_b64 vcc, s[4:5], s[2:3]
	v_addc_co_u32_e32 v20, vcc, 0, v20, vcc
	v_cmp_gt_i32_e32 vcc, 31, v19
	v_cndmask_b32_e32 v18, v2, v18, vcc
	v_cmp_gt_i32_e32 vcc, 31, v21
	v_lshl_or_b32 v3, v3, 9, v2
	v_cndmask_b32_e32 v20, v2, v20, vcc
	v_cmp_eq_u32_e32 vcc, s14, v19
	v_lshl_or_b32 v5, v5, 9, v2
	v_cndmask_b32_e32 v3, v18, v3, vcc
	v_cmp_eq_u32_e32 vcc, s14, v21
	v_lshrrev_b32_e32 v4, 16, v4
	v_lshrrev_b32_e32 v6, 16, v6
	v_cndmask_b32_e32 v5, v20, v5, vcc
	v_and_or_b32 v3, v4, s15, v3
	v_and_or_b32 v4, v6, s15, v5
	v_mul_f16_sdwa v6, v11, v9 dst_sel:DWORD dst_unused:UNUSED_PAD src0_sel:DWORD src1_sel:WORD_1
	v_and_b32_e32 v3, 0xffff, v3
	v_fma_f16 v6, v9, v17, -v6
	v_lshl_or_b32 v3, v4, 16, v3
	v_add_u32_e32 v5, 0xfffffc10, v23
	v_cvt_f32_f16_e32 v6, v6
	v_or_b32_e32 v22, v31, v22
	global_store_dword v[0:1], v3, off
	v_lshl_or_b32 v3, v5, 12, v7
	v_cmp_gt_i32_e32 vcc, 1, v5
	v_cndmask_b32_e32 v3, v3, v22, vcc
	v_and_b32_e32 v4, 7, v3
	v_cmp_lt_i32_e32 vcc, 5, v4
	v_cmp_eq_u32_e64 s[0:1], 3, v4
	v_lshrrev_b32_e32 v9, 2, v3
	v_cvt_f64_f32_e32 v[3:4], v6
	s_or_b64 vcc, s[0:1], vcc
	v_addc_co_u32_e32 v6, vcc, 0, v9, vcc
	v_mul_f64 v[3:4], v[3:4], s[12:13]
	v_cmp_gt_i32_e32 vcc, 31, v5
	v_cndmask_b32_e32 v6, v2, v6, vcc
	v_cmp_ne_u32_e32 vcc, 0, v7
	v_cndmask_b32_e64 v7, 0, 1, vcc
	v_lshl_or_b32 v7, v7, 9, v2
	v_cmp_eq_u32_e32 vcc, s14, v5
	v_cndmask_b32_e32 v5, v6, v7, vcc
	v_and_or_b32 v3, v4, s10, v3
	v_lshrrev_b32_e32 v6, 16, v8
	v_cmp_ne_u32_e32 vcc, 0, v3
	v_and_or_b32 v9, v6, s15, v5
	v_cndmask_b32_e64 v3, 0, 1, vcc
	v_lshrrev_b32_e32 v5, 8, v4
	v_bfe_u32 v6, v4, 20, 11
	v_and_or_b32 v3, v5, s11, v3
	v_sub_u32_e32 v7, 0x3f1, v6
	v_or_b32_e32 v5, 0x1000, v3
	v_med3_i32 v7, v7, 0, 13
	v_lshrrev_b32_e32 v8, v7, v5
	v_lshlrev_b32_e32 v7, v7, v8
	v_cmp_ne_u32_e32 vcc, v7, v5
	v_cndmask_b32_e64 v5, 0, 1, vcc
	v_add_u32_e32 v6, 0xfffffc10, v6
	v_or_b32_e32 v5, v8, v5
	v_lshl_or_b32 v7, v6, 12, v3
	v_cmp_gt_i32_e32 vcc, 1, v6
	v_cndmask_b32_e32 v5, v7, v5, vcc
	v_and_b32_e32 v7, 7, v5
	v_cmp_lt_i32_e32 vcc, 5, v7
	v_cmp_eq_u32_e64 s[0:1], 3, v7
	s_waitcnt lgkmcnt(2)
	v_lshrrev_b32_e32 v11, 16, v14
	v_lshrrev_b32_e32 v5, 2, v5
	s_or_b64 vcc, s[0:1], vcc
	s_waitcnt vmcnt(1)
	v_mul_f16_sdwa v7, v11, v10 dst_sel:DWORD dst_unused:UNUSED_PAD src0_sel:DWORD src1_sel:WORD_1
	v_addc_co_u32_e32 v5, vcc, 0, v5, vcc
	v_fma_f16 v7, v14, v10, v7
	v_cmp_gt_i32_e32 vcc, 31, v6
	v_cvt_f32_f16_e32 v7, v7
	v_cndmask_b32_e32 v5, v2, v5, vcc
	v_cmp_ne_u32_e32 vcc, 0, v3
	v_cndmask_b32_e64 v3, 0, 1, vcc
	v_lshl_or_b32 v3, v3, 9, v2
	v_cmp_eq_u32_e32 vcc, s14, v6
	v_cndmask_b32_e32 v3, v5, v3, vcc
	v_cvt_f64_f32_e32 v[5:6], v7
	v_add_co_u32_e32 v7, vcc, s16, v12
	v_addc_co_u32_e32 v8, vcc, 0, v13, vcc
	global_load_dword v12, v[7:8], off offset:1000
	v_lshrrev_b32_e32 v4, 16, v4
	v_and_or_b32 v13, v4, s15, v3
	v_mul_f64 v[3:4], v[5:6], s[12:13]
	v_and_b32_e32 v9, 0xffff, v9
	v_lshl_or_b32 v5, v13, 16, v9
	v_mov_b32_e32 v9, s7
	v_add_co_u32_e32 v0, vcc, s6, v0
	v_addc_co_u32_e32 v1, vcc, v1, v9, vcc
	v_and_or_b32 v3, v4, s10, v3
	v_cmp_ne_u32_e32 vcc, 0, v3
	global_store_dword v[0:1], v5, off
	v_cndmask_b32_e64 v3, 0, 1, vcc
	v_lshrrev_b32_e32 v5, 8, v4
	v_bfe_u32 v6, v4, 20, 11
	v_and_or_b32 v3, v5, s11, v3
	v_sub_u32_e32 v13, 0x3f1, v6
	v_or_b32_e32 v5, 0x1000, v3
	v_med3_i32 v13, v13, 0, 13
	v_lshrrev_b32_e32 v17, v13, v5
	v_lshlrev_b32_e32 v13, v13, v17
	v_mul_f16_sdwa v14, v14, v10 dst_sel:DWORD dst_unused:UNUSED_PAD src0_sel:DWORD src1_sel:WORD_1
	v_cmp_ne_u32_e32 vcc, v13, v5
	v_fma_f16 v10, v10, v11, -v14
	v_cndmask_b32_e64 v5, 0, 1, vcc
	v_add_u32_e32 v13, 0xfffffc10, v6
	v_cvt_f32_f16_e32 v10, v10
	v_or_b32_e32 v5, v17, v5
	v_lshl_or_b32 v6, v13, 12, v3
	v_cmp_gt_i32_e32 vcc, 1, v13
	v_cndmask_b32_e32 v5, v6, v5, vcc
	v_and_b32_e32 v6, 7, v5
	v_cmp_lt_i32_e32 vcc, 5, v6
	v_cmp_eq_u32_e64 s[0:1], 3, v6
	v_lshrrev_b32_e32 v11, 2, v5
	v_cvt_f64_f32_e32 v[5:6], v10
	s_or_b64 vcc, s[0:1], vcc
	v_addc_co_u32_e32 v10, vcc, 0, v11, vcc
	v_mul_f64 v[5:6], v[5:6], s[12:13]
	v_cmp_gt_i32_e32 vcc, 31, v13
	v_cndmask_b32_e32 v10, v2, v10, vcc
	v_cmp_ne_u32_e32 vcc, 0, v3
	v_cndmask_b32_e64 v3, 0, 1, vcc
	global_load_dword v7, v[7:8], off offset:2372
	v_lshl_or_b32 v3, v3, 9, v2
	v_cmp_eq_u32_e32 vcc, s14, v13
	v_cndmask_b32_e32 v3, v10, v3, vcc
	v_lshrrev_b32_e32 v4, 16, v4
	v_and_or_b32 v10, v4, s15, v3
	v_and_or_b32 v3, v6, s10, v5
	v_cmp_ne_u32_e32 vcc, 0, v3
	v_cndmask_b32_e64 v3, 0, 1, vcc
	v_lshrrev_b32_e32 v4, 8, v6
	v_bfe_u32 v5, v6, 20, 11
	v_and_or_b32 v3, v4, s11, v3
	v_sub_u32_e32 v11, 0x3f1, v5
	v_or_b32_e32 v4, 0x1000, v3
	v_med3_i32 v11, v11, 0, 13
	v_lshrrev_b32_e32 v13, v11, v4
	v_lshlrev_b32_e32 v11, v11, v13
	v_cmp_ne_u32_e32 vcc, v11, v4
	v_cndmask_b32_e64 v4, 0, 1, vcc
	v_add_u32_e32 v5, 0xfffffc10, v5
	v_or_b32_e32 v4, v13, v4
	v_lshl_or_b32 v11, v5, 12, v3
	v_cmp_gt_i32_e32 vcc, 1, v5
	v_cndmask_b32_e32 v4, v11, v4, vcc
	v_and_b32_e32 v11, 7, v4
	v_cmp_lt_i32_e32 vcc, 5, v11
	v_cmp_eq_u32_e64 s[0:1], 3, v11
	v_lshrrev_b32_e32 v4, 2, v4
	s_or_b64 vcc, s[0:1], vcc
	v_addc_co_u32_e32 v4, vcc, 0, v4, vcc
	v_cmp_gt_i32_e32 vcc, 31, v5
	s_waitcnt lgkmcnt(1)
	v_lshrrev_b32_e32 v13, 16, v15
	v_cndmask_b32_e32 v11, v2, v4, vcc
	s_waitcnt vmcnt(2)
	v_mul_f16_sdwa v4, v13, v12 dst_sel:DWORD dst_unused:UNUSED_PAD src0_sel:DWORD src1_sel:WORD_1
	v_fma_f16 v4, v15, v12, v4
	v_cvt_f32_f16_e32 v4, v4
	v_cmp_ne_u32_e32 vcc, 0, v3
	v_cndmask_b32_e64 v3, 0, 1, vcc
	v_lshl_or_b32 v8, v3, 9, v2
	v_cvt_f64_f32_e32 v[3:4], v4
	v_cmp_eq_u32_e32 vcc, s14, v5
	v_cndmask_b32_e32 v5, v11, v8, vcc
	v_lshrrev_b32_e32 v6, 16, v6
	v_mul_f64 v[3:4], v[3:4], s[12:13]
	v_add_co_u32_e32 v0, vcc, s6, v0
	v_and_or_b32 v5, v6, s15, v5
	v_and_b32_e32 v6, 0xffff, v10
	v_addc_co_u32_e32 v1, vcc, v1, v9, vcc
	v_lshl_or_b32 v5, v5, 16, v6
	v_and_or_b32 v3, v4, s10, v3
	v_cmp_ne_u32_e32 vcc, 0, v3
	global_store_dword v[0:1], v5, off
	v_cndmask_b32_e64 v3, 0, 1, vcc
	v_lshrrev_b32_e32 v5, 8, v4
	v_bfe_u32 v6, v4, 20, 11
	v_and_or_b32 v3, v5, s11, v3
	v_sub_u32_e32 v8, 0x3f1, v6
	v_or_b32_e32 v5, 0x1000, v3
	v_med3_i32 v8, v8, 0, 13
	v_lshrrev_b32_e32 v10, v8, v5
	v_lshlrev_b32_e32 v8, v8, v10
	v_cmp_ne_u32_e32 vcc, v8, v5
	v_cndmask_b32_e64 v5, 0, 1, vcc
	v_or_b32_e32 v5, v10, v5
	v_mul_f16_sdwa v10, v15, v12 dst_sel:DWORD dst_unused:UNUSED_PAD src0_sel:DWORD src1_sel:WORD_1
	v_fma_f16 v10, v12, v13, -v10
	v_add_u32_e32 v8, 0xfffffc10, v6
	v_cvt_f32_f16_e32 v10, v10
	v_lshl_or_b32 v6, v8, 12, v3
	v_cmp_gt_i32_e32 vcc, 1, v8
	v_cndmask_b32_e32 v5, v6, v5, vcc
	v_and_b32_e32 v6, 7, v5
	v_cmp_lt_i32_e32 vcc, 5, v6
	v_cmp_eq_u32_e64 s[0:1], 3, v6
	v_lshrrev_b32_e32 v11, 2, v5
	v_cvt_f64_f32_e32 v[5:6], v10
	s_or_b64 vcc, s[0:1], vcc
	v_addc_co_u32_e32 v10, vcc, 0, v11, vcc
	v_mul_f64 v[5:6], v[5:6], s[12:13]
	v_cmp_gt_i32_e32 vcc, 31, v8
	v_cndmask_b32_e32 v10, v2, v10, vcc
	v_cmp_ne_u32_e32 vcc, 0, v3
	v_cndmask_b32_e64 v3, 0, 1, vcc
	v_lshl_or_b32 v3, v3, 9, v2
	v_cmp_eq_u32_e32 vcc, s14, v8
	v_cndmask_b32_e32 v3, v10, v3, vcc
	v_lshrrev_b32_e32 v4, 16, v4
	v_and_or_b32 v8, v4, s15, v3
	v_and_or_b32 v3, v6, s10, v5
	v_cmp_ne_u32_e32 vcc, 0, v3
	v_cndmask_b32_e64 v3, 0, 1, vcc
	v_lshrrev_b32_e32 v4, 8, v6
	v_bfe_u32 v5, v6, 20, 11
	v_and_or_b32 v3, v4, s11, v3
	v_sub_u32_e32 v10, 0x3f1, v5
	v_or_b32_e32 v4, 0x1000, v3
	v_med3_i32 v10, v10, 0, 13
	v_lshrrev_b32_e32 v11, v10, v4
	v_lshlrev_b32_e32 v10, v10, v11
	v_cmp_ne_u32_e32 vcc, v10, v4
	v_cndmask_b32_e64 v4, 0, 1, vcc
	v_add_u32_e32 v5, 0xfffffc10, v5
	v_or_b32_e32 v4, v11, v4
	v_lshl_or_b32 v10, v5, 12, v3
	v_cmp_gt_i32_e32 vcc, 1, v5
	v_cndmask_b32_e32 v4, v10, v4, vcc
	v_and_b32_e32 v10, 7, v4
	v_cmp_lt_i32_e32 vcc, 5, v10
	v_cmp_eq_u32_e64 s[0:1], 3, v10
	v_lshrrev_b32_e32 v4, 2, v4
	s_or_b64 vcc, s[0:1], vcc
	v_addc_co_u32_e32 v4, vcc, 0, v4, vcc
	v_cmp_gt_i32_e32 vcc, 31, v5
	s_waitcnt lgkmcnt(0)
	v_lshrrev_b32_e32 v11, 16, v16
	v_cndmask_b32_e32 v10, v2, v4, vcc
	s_waitcnt vmcnt(1)
	v_mul_f16_sdwa v4, v11, v7 dst_sel:DWORD dst_unused:UNUSED_PAD src0_sel:DWORD src1_sel:WORD_1
	v_fma_f16 v4, v16, v7, v4
	v_cvt_f32_f16_e32 v4, v4
	v_cmp_ne_u32_e32 vcc, 0, v3
	v_cndmask_b32_e64 v3, 0, 1, vcc
	v_lshl_or_b32 v12, v3, 9, v2
	v_cvt_f64_f32_e32 v[3:4], v4
	v_cmp_eq_u32_e32 vcc, s14, v5
	v_cndmask_b32_e32 v5, v10, v12, vcc
	v_lshrrev_b32_e32 v6, 16, v6
	v_mul_f64 v[3:4], v[3:4], s[12:13]
	v_add_co_u32_e32 v0, vcc, s6, v0
	v_and_or_b32 v5, v6, s15, v5
	v_and_b32_e32 v6, 0xffff, v8
	v_addc_co_u32_e32 v1, vcc, v1, v9, vcc
	v_lshl_or_b32 v5, v5, 16, v6
	v_and_or_b32 v3, v4, s10, v3
	v_cmp_ne_u32_e32 vcc, 0, v3
	global_store_dword v[0:1], v5, off
	v_cndmask_b32_e64 v3, 0, 1, vcc
	v_lshrrev_b32_e32 v5, 8, v4
	v_bfe_u32 v6, v4, 20, 11
	v_and_or_b32 v3, v5, s11, v3
	v_sub_u32_e32 v8, 0x3f1, v6
	v_or_b32_e32 v5, 0x1000, v3
	v_med3_i32 v8, v8, 0, 13
	v_lshrrev_b32_e32 v10, v8, v5
	v_lshlrev_b32_e32 v8, v8, v10
	v_cmp_ne_u32_e32 vcc, v8, v5
	v_cndmask_b32_e64 v5, 0, 1, vcc
	v_or_b32_e32 v5, v10, v5
	v_mul_f16_sdwa v10, v16, v7 dst_sel:DWORD dst_unused:UNUSED_PAD src0_sel:DWORD src1_sel:WORD_1
	v_fma_f16 v7, v7, v11, -v10
	v_add_u32_e32 v8, 0xfffffc10, v6
	v_cvt_f32_f16_e32 v7, v7
	v_lshl_or_b32 v6, v8, 12, v3
	v_cmp_gt_i32_e32 vcc, 1, v8
	v_cndmask_b32_e32 v5, v6, v5, vcc
	v_and_b32_e32 v6, 7, v5
	v_cmp_lt_i32_e32 vcc, 5, v6
	v_cmp_eq_u32_e64 s[0:1], 3, v6
	v_lshrrev_b32_e32 v10, 2, v5
	v_cvt_f64_f32_e32 v[5:6], v7
	s_or_b64 vcc, s[0:1], vcc
	v_addc_co_u32_e32 v7, vcc, 0, v10, vcc
	v_mul_f64 v[5:6], v[5:6], s[12:13]
	v_cmp_gt_i32_e32 vcc, 31, v8
	v_cndmask_b32_e32 v7, v2, v7, vcc
	v_cmp_ne_u32_e32 vcc, 0, v3
	v_cndmask_b32_e64 v3, 0, 1, vcc
	v_lshl_or_b32 v3, v3, 9, v2
	v_cmp_eq_u32_e32 vcc, s14, v8
	v_cndmask_b32_e32 v3, v7, v3, vcc
	v_lshrrev_b32_e32 v4, 16, v4
	v_and_or_b32 v3, v4, s15, v3
	v_and_or_b32 v4, v6, s10, v5
	v_cmp_ne_u32_e32 vcc, 0, v4
	v_cndmask_b32_e64 v4, 0, 1, vcc
	v_lshrrev_b32_e32 v5, 8, v6
	v_bfe_u32 v7, v6, 20, 11
	v_and_or_b32 v4, v5, s11, v4
	v_sub_u32_e32 v8, 0x3f1, v7
	v_or_b32_e32 v5, 0x1000, v4
	v_med3_i32 v8, v8, 0, 13
	v_lshrrev_b32_e32 v10, v8, v5
	v_lshlrev_b32_e32 v8, v8, v10
	v_cmp_ne_u32_e32 vcc, v8, v5
	v_cndmask_b32_e64 v5, 0, 1, vcc
	v_add_u32_e32 v7, 0xfffffc10, v7
	v_or_b32_e32 v5, v10, v5
	v_lshl_or_b32 v8, v7, 12, v4
	v_cmp_gt_i32_e32 vcc, 1, v7
	v_cndmask_b32_e32 v5, v8, v5, vcc
	v_and_b32_e32 v8, 7, v5
	v_cmp_lt_i32_e32 vcc, 5, v8
	v_cmp_eq_u32_e64 s[0:1], 3, v8
	v_lshrrev_b32_e32 v5, 2, v5
	s_or_b64 vcc, s[0:1], vcc
	v_addc_co_u32_e32 v5, vcc, 0, v5, vcc
	v_cmp_gt_i32_e32 vcc, 31, v7
	v_cndmask_b32_e32 v5, v2, v5, vcc
	v_cmp_ne_u32_e32 vcc, 0, v4
	v_cndmask_b32_e64 v4, 0, 1, vcc
	v_lshl_or_b32 v2, v4, 9, v2
	v_cmp_eq_u32_e32 vcc, s14, v7
	v_cndmask_b32_e32 v2, v5, v2, vcc
	v_lshrrev_b32_e32 v4, 16, v6
	v_and_or_b32 v2, v4, s15, v2
	v_and_b32_e32 v3, 0xffff, v3
	v_add_co_u32_e32 v0, vcc, s6, v0
	v_lshl_or_b32 v2, v2, 16, v3
	v_addc_co_u32_e32 v1, vcc, v1, v9, vcc
	global_store_dword v[0:1], v2, off
.LBB0_15:
	s_endpgm
	.section	.rodata,"a",@progbits
	.p2align	6, 0x0
	.amdhsa_kernel bluestein_single_fwd_len1715_dim1_half_op_CI_CI
		.amdhsa_group_segment_fixed_size 6860
		.amdhsa_private_segment_fixed_size 0
		.amdhsa_kernarg_size 104
		.amdhsa_user_sgpr_count 6
		.amdhsa_user_sgpr_private_segment_buffer 1
		.amdhsa_user_sgpr_dispatch_ptr 0
		.amdhsa_user_sgpr_queue_ptr 0
		.amdhsa_user_sgpr_kernarg_segment_ptr 1
		.amdhsa_user_sgpr_dispatch_id 0
		.amdhsa_user_sgpr_flat_scratch_init 0
		.amdhsa_user_sgpr_private_segment_size 0
		.amdhsa_uses_dynamic_stack 0
		.amdhsa_system_sgpr_private_segment_wavefront_offset 0
		.amdhsa_system_sgpr_workgroup_id_x 1
		.amdhsa_system_sgpr_workgroup_id_y 0
		.amdhsa_system_sgpr_workgroup_id_z 0
		.amdhsa_system_sgpr_workgroup_info 0
		.amdhsa_system_vgpr_workitem_id 0
		.amdhsa_next_free_vgpr 58
		.amdhsa_next_free_sgpr 24
		.amdhsa_reserve_vcc 1
		.amdhsa_reserve_flat_scratch 0
		.amdhsa_float_round_mode_32 0
		.amdhsa_float_round_mode_16_64 0
		.amdhsa_float_denorm_mode_32 3
		.amdhsa_float_denorm_mode_16_64 3
		.amdhsa_dx10_clamp 1
		.amdhsa_ieee_mode 1
		.amdhsa_fp16_overflow 0
		.amdhsa_exception_fp_ieee_invalid_op 0
		.amdhsa_exception_fp_denorm_src 0
		.amdhsa_exception_fp_ieee_div_zero 0
		.amdhsa_exception_fp_ieee_overflow 0
		.amdhsa_exception_fp_ieee_underflow 0
		.amdhsa_exception_fp_ieee_inexact 0
		.amdhsa_exception_int_div_zero 0
	.end_amdhsa_kernel
	.text
.Lfunc_end0:
	.size	bluestein_single_fwd_len1715_dim1_half_op_CI_CI, .Lfunc_end0-bluestein_single_fwd_len1715_dim1_half_op_CI_CI
                                        ; -- End function
	.section	.AMDGPU.csdata,"",@progbits
; Kernel info:
; codeLenInByte = 13752
; NumSgprs: 28
; NumVgprs: 58
; ScratchSize: 0
; MemoryBound: 0
; FloatMode: 240
; IeeeMode: 1
; LDSByteSize: 6860 bytes/workgroup (compile time only)
; SGPRBlocks: 3
; VGPRBlocks: 14
; NumSGPRsForWavesPerEU: 28
; NumVGPRsForWavesPerEU: 58
; Occupancy: 4
; WaveLimiterHint : 1
; COMPUTE_PGM_RSRC2:SCRATCH_EN: 0
; COMPUTE_PGM_RSRC2:USER_SGPR: 6
; COMPUTE_PGM_RSRC2:TRAP_HANDLER: 0
; COMPUTE_PGM_RSRC2:TGID_X_EN: 1
; COMPUTE_PGM_RSRC2:TGID_Y_EN: 0
; COMPUTE_PGM_RSRC2:TGID_Z_EN: 0
; COMPUTE_PGM_RSRC2:TIDIG_COMP_CNT: 0
	.type	__hip_cuid_72dc6b882eb5518f,@object ; @__hip_cuid_72dc6b882eb5518f
	.section	.bss,"aw",@nobits
	.globl	__hip_cuid_72dc6b882eb5518f
__hip_cuid_72dc6b882eb5518f:
	.byte	0                               ; 0x0
	.size	__hip_cuid_72dc6b882eb5518f, 1

	.ident	"AMD clang version 19.0.0git (https://github.com/RadeonOpenCompute/llvm-project roc-6.4.0 25133 c7fe45cf4b819c5991fe208aaa96edf142730f1d)"
	.section	".note.GNU-stack","",@progbits
	.addrsig
	.addrsig_sym __hip_cuid_72dc6b882eb5518f
	.amdgpu_metadata
---
amdhsa.kernels:
  - .args:
      - .actual_access:  read_only
        .address_space:  global
        .offset:         0
        .size:           8
        .value_kind:     global_buffer
      - .actual_access:  read_only
        .address_space:  global
        .offset:         8
        .size:           8
        .value_kind:     global_buffer
      - .actual_access:  read_only
        .address_space:  global
        .offset:         16
        .size:           8
        .value_kind:     global_buffer
      - .actual_access:  read_only
        .address_space:  global
        .offset:         24
        .size:           8
        .value_kind:     global_buffer
      - .actual_access:  read_only
        .address_space:  global
        .offset:         32
        .size:           8
        .value_kind:     global_buffer
      - .offset:         40
        .size:           8
        .value_kind:     by_value
      - .address_space:  global
        .offset:         48
        .size:           8
        .value_kind:     global_buffer
      - .address_space:  global
        .offset:         56
        .size:           8
        .value_kind:     global_buffer
      - .address_space:  global
        .offset:         64
        .size:           8
        .value_kind:     global_buffer
      - .address_space:  global
        .offset:         72
        .size:           8
        .value_kind:     global_buffer
      - .offset:         80
        .size:           4
        .value_kind:     by_value
      - .address_space:  global
        .offset:         88
        .size:           8
        .value_kind:     global_buffer
      - .address_space:  global
        .offset:         96
        .size:           8
        .value_kind:     global_buffer
    .group_segment_fixed_size: 6860
    .kernarg_segment_align: 8
    .kernarg_segment_size: 104
    .language:       OpenCL C
    .language_version:
      - 2
      - 0
    .max_flat_workgroup_size: 245
    .name:           bluestein_single_fwd_len1715_dim1_half_op_CI_CI
    .private_segment_fixed_size: 0
    .sgpr_count:     28
    .sgpr_spill_count: 0
    .symbol:         bluestein_single_fwd_len1715_dim1_half_op_CI_CI.kd
    .uniform_work_group_size: 1
    .uses_dynamic_stack: false
    .vgpr_count:     58
    .vgpr_spill_count: 0
    .wavefront_size: 64
amdhsa.target:   amdgcn-amd-amdhsa--gfx906
amdhsa.version:
  - 1
  - 2
...

	.end_amdgpu_metadata
